;; amdgpu-corpus repo=ROCm/Tensile kind=harvested arch=n/a opt=n/a

/******************************************/
/* Function Prefix                        */
/******************************************/



/******************************************/
/* Begin Kernel                           */
/******************************************/

// Component.Signature.SignatureDefault
.amdgcn_target "amdgcn-amd-amdhsa--gfx90a"
.text
.protected Cijk_Alik_Bljk_BBS_BH_MT96x128x64_MI32x32x8x1_SN_1LDSB1_APM1_AF0EM1_AF1EM1_AMAS0_ASGT_ASLT_ASAE01_ASCE01_ASEM1_BL1_BS1_CLR0_DTLA0_DTLB0_DTVA0_DVO0_EPS1_FL0_GLVWA8_GLVWB8_GRVW8_GSU1_GSUASB_GLS0_ISA90a_IU1_K1_KLA_LBSPPA128_LBSPPB128_LPA8_LPB8_LDL1_LRVW8_LDW0_FMA_MIAV0_MMFGLC_NTA0_NTB0_NTC0_NTD0_NEPBS0_NLCA1_NLCB1_ONLL1_OPLV0_PK0_PAP0_PGR2_PLR9_SIA3_SS1_SU0_SUM0_SUS0_SCIUI1_SPO0_SRVW0_SSO4_SVW1_SNLL0_TT3_32_TLDS1_UMLDSA1_UMLDSB1_USFGROn1_VAW1_VSn1_VW1_VWB1_VFLRP0_WSGRA1_WSGRB0_WG32_8_1_WGM8
.globl Cijk_Alik_Bljk_BBS_BH_MT96x128x64_MI32x32x8x1_SN_1LDSB1_APM1_AF0EM1_AF1EM1_AMAS0_ASGT_ASLT_ASAE01_ASCE01_ASEM1_BL1_BS1_CLR0_DTLA0_DTLB0_DTVA0_DVO0_EPS1_FL0_GLVWA8_GLVWB8_GRVW8_GSU1_GSUASB_GLS0_ISA90a_IU1_K1_KLA_LBSPPA128_LBSPPB128_LPA8_LPB8_LDL1_LRVW8_LDW0_FMA_MIAV0_MMFGLC_NTA0_NTB0_NTC0_NTD0_NEPBS0_NLCA1_NLCB1_ONLL1_OPLV0_PK0_PAP0_PGR2_PLR9_SIA3_SS1_SU0_SUM0_SUS0_SCIUI1_SPO0_SRVW0_SSO4_SVW1_SNLL0_TT3_32_TLDS1_UMLDSA1_UMLDSB1_USFGROn1_VAW1_VSn1_VW1_VWB1_VFLRP0_WSGRA1_WSGRB0_WG32_8_1_WGM8
.p2align 8
.type Cijk_Alik_Bljk_BBS_BH_MT96x128x64_MI32x32x8x1_SN_1LDSB1_APM1_AF0EM1_AF1EM1_AMAS0_ASGT_ASLT_ASAE01_ASCE01_ASEM1_BL1_BS1_CLR0_DTLA0_DTLB0_DTVA0_DVO0_EPS1_FL0_GLVWA8_GLVWB8_GRVW8_GSU1_GSUASB_GLS0_ISA90a_IU1_K1_KLA_LBSPPA128_LBSPPB128_LPA8_LPB8_LDL1_LRVW8_LDW0_FMA_MIAV0_MMFGLC_NTA0_NTB0_NTC0_NTD0_NEPBS0_NLCA1_NLCB1_ONLL1_OPLV0_PK0_PAP0_PGR2_PLR9_SIA3_SS1_SU0_SUM0_SUS0_SCIUI1_SPO0_SRVW0_SSO4_SVW1_SNLL0_TT3_32_TLDS1_UMLDSA1_UMLDSB1_USFGROn1_VAW1_VSn1_VW1_VWB1_VFLRP0_WSGRA1_WSGRB0_WG32_8_1_WGM8,@function
.section .rodata,#alloc
.p2align 6
.amdhsa_kernel Cijk_Alik_Bljk_BBS_BH_MT96x128x64_MI32x32x8x1_SN_1LDSB1_APM1_AF0EM1_AF1EM1_AMAS0_ASGT_ASLT_ASAE01_ASCE01_ASEM1_BL1_BS1_CLR0_DTLA0_DTLB0_DTVA0_DVO0_EPS1_FL0_GLVWA8_GLVWB8_GRVW8_GSU1_GSUASB_GLS0_ISA90a_IU1_K1_KLA_LBSPPA128_LBSPPB128_LPA8_LPB8_LDL1_LRVW8_LDW0_FMA_MIAV0_MMFGLC_NTA0_NTB0_NTC0_NTD0_NEPBS0_NLCA1_NLCB1_ONLL1_OPLV0_PK0_PAP0_PGR2_PLR9_SIA3_SS1_SU0_SUM0_SUS0_SCIUI1_SPO0_SRVW0_SSO4_SVW1_SNLL0_TT3_32_TLDS1_UMLDSA1_UMLDSB1_USFGROn1_VAW1_VSn1_VW1_VWB1_VFLRP0_WSGRA1_WSGRB0_WG32_8_1_WGM8
  .amdhsa_user_sgpr_kernarg_segment_ptr 1
  .amdhsa_user_sgpr_kernarg_preload_offset 0
  .amdhsa_user_sgpr_kernarg_preload_length 0
  .amdhsa_user_sgpr_count 2
  .amdhsa_accum_offset 208 // accvgpr offset
  .amdhsa_next_free_vgpr 256 // vgprs
  .amdhsa_next_free_sgpr 62 // sgprs
  .amdhsa_group_segment_fixed_size 32256 // lds bytes
  .amdhsa_private_segment_fixed_size 0
  .amdhsa_system_sgpr_workgroup_id_x 1
  .amdhsa_system_sgpr_workgroup_id_y 1
  .amdhsa_system_sgpr_workgroup_id_z 1
  .amdhsa_system_vgpr_workitem_id 0
  .amdhsa_float_denorm_mode_32 3
  .amdhsa_float_denorm_mode_16_64 3
.end_amdhsa_kernel
.text

/******************************************/
/* Optimizations and Config:              */
/******************************************/
/* ThreadTile= 48 x 1 */
/* SubGroup= 2 x 128 */
/* VectorWidthA=1 */
/* VectorWidthB=1 */
/* GlobalLoadVectorWidthA=8, GlobalLoadVectorWidthB=8 */
/* DirectToLdsA=False */
/* DirectToLdsB=False */
/* UseSgprForGRO=1 */
.amdgpu_metadata
---
amdhsa.version:
  - 1
  - 1
amdhsa.target: amdgcn-amd-amdhsa--gfx90a
amdhsa.kernels:
  - .name: Cijk_Alik_Bljk_BBS_BH_MT96x128x64_MI32x32x8x1_SN_1LDSB1_APM1_AF0EM1_AF1EM1_AMAS0_ASGT_ASLT_ASAE01_ASCE01_ASEM1_BL1_BS1_CLR0_DTLA0_DTLB0_DTVA0_DVO0_EPS1_FL0_GLVWA8_GLVWB8_GRVW8_GSU1_GSUASB_GLS0_ISA90a_IU1_K1_KLA_LBSPPA128_LBSPPB128_LPA8_LPB8_LDL1_LRVW8_LDW0_FMA_MIAV0_MMFGLC_NTA0_NTB0_NTC0_NTD0_NEPBS0_NLCA1_NLCB1_ONLL1_OPLV0_PK0_PAP0_PGR2_PLR9_SIA3_SS1_SU0_SUM0_SUS0_SCIUI1_SPO0_SRVW0_SSO4_SVW1_SNLL0_TT3_32_TLDS1_UMLDSA1_UMLDSB1_USFGROn1_VAW1_VSn1_VW1_VWB1_VFLRP0_WSGRA1_WSGRB0_WG32_8_1_WGM8
    .symbol: 'Cijk_Alik_Bljk_BBS_BH_MT96x128x64_MI32x32x8x1_SN_1LDSB1_APM1_AF0EM1_AF1EM1_AMAS0_ASGT_ASLT_ASAE01_ASCE01_ASEM1_BL1_BS1_CLR0_DTLA0_DTLB0_DTVA0_DVO0_EPS1_FL0_GLVWA8_GLVWB8_GRVW8_GSU1_GSUASB_GLS0_ISA90a_IU1_K1_KLA_LBSPPA128_LBSPPB128_LPA8_LPB8_LDL1_LRVW8_LDW0_FMA_MIAV0_MMFGLC_NTA0_NTB0_NTC0_NTD0_NEPBS0_NLCA1_NLCB1_ONLL1_OPLV0_PK0_PAP0_PGR2_PLR9_SIA3_SS1_SU0_SUM0_SUS0_SCIUI1_SPO0_SRVW0_SSO4_SVW1_SNLL0_TT3_32_TLDS1_UMLDSA1_UMLDSB1_USFGROn1_VAW1_VSn1_VW1_VWB1_VFLRP0_WSGRA1_WSGRB0_WG32_8_1_WGM8.kd'
    .language:                   OpenCL C
    .language_version:
      - 2
      - 0
    .args:
      - .name:            Tensor2dSizeA
        .size:            8
        .offset:          0
        .value_kind:      by_value
        .value_type:      u64
      - .name:            Tensor2dSizeB
        .size:            8
        .offset:          8
        .value_kind:      by_value
        .value_type:      u64
      - .name:            AddressD
        .size:            8
        .offset:          16
        .value_kind:      by_value
        .value_type:      u64
      - .name:            AddressC
        .size:            8
        .offset:          24
        .value_kind:      by_value
        .value_type:      u64
      - .name:            AddressA
        .size:            8
        .offset:          32
        .value_kind:      by_value
        .value_type:      u64
      - .name:            AddressB
        .size:            8
        .offset:          40
        .value_kind:      by_value
        .value_type:      u64
      - .name:            Alpha
        .size:            4
        .offset:          48
        .value_kind:      by_value
        .value_type:      u32
      - .name:            Beta
        .size:            4
        .offset:          52
        .value_kind:      by_value
        .value_type:      u32
      - .name:            StridesD
        .size:            8
        .offset:          56
        .value_kind:      by_value
        .value_type:      u64
      - .name:            StridesC
        .size:            8
        .offset:          64
        .value_kind:      by_value
        .value_type:      u64
      - .name:            StridesA
        .size:            8
        .offset:          72
        .value_kind:      by_value
        .value_type:      u64
      - .name:            StridesB
        .size:            8
        .offset:          80
        .value_kind:      by_value
        .value_type:      u64
      - .name:            SizesFree
        .size:            12
        .offset:          88
        .value_kind:      by_value
        .value_type:      u96
      - .name:            SizesSum
        .size:            4
        .offset:          100
        .value_kind:      by_value
        .value_type:      u32
      - .name:            NumWorkGroups0
        .size:            4
        .offset:          104
        .value_kind:      by_value
        .value_type:      u32
      - .name:            NumWorkGroups1
        .size:            4
        .offset:          108
        .value_kind:      by_value
        .value_type:      u32
      - .name:            NumFullBlocks
        .size:            4
        .offset:          112
        .value_kind:      by_value
        .value_type:      u32
      - .name:            WgmRemainder1
        .size:            4
        .offset:          116
        .value_kind:      by_value
        .value_type:      u32
      - .name:            MagicNumberWgmRemainder1
        .size:            4
        .offset:          120
        .value_kind:      by_value
        .value_type:      u32
    .group_segment_fixed_size:   32256
    .kernarg_segment_align:      8
    .kernarg_segment_size:       128
    .max_flat_workgroup_size:    256
    .private_segment_fixed_size: 0
    .sgpr_count:                 62
    .sgpr_spill_count:           0
    .vgpr_count:                 208
    .vgpr_spill_count:           0
    .wavefront_size:             64
...
.end_amdgpu_metadata
Cijk_Alik_Bljk_BBS_BH_MT96x128x64_MI32x32x8x1_SN_1LDSB1_APM1_AF0EM1_AF1EM1_AMAS0_ASGT_ASLT_ASAE01_ASCE01_ASEM1_BL1_BS1_CLR0_DTLA0_DTLB0_DTVA0_DVO0_EPS1_FL0_GLVWA8_GLVWB8_GRVW8_GSU1_GSUASB_GLS0_ISA90a_IU1_K1_KLA_LBSPPA128_LBSPPB128_LPA8_LPB8_LDL1_LRVW8_LDW0_FMA_MIAV0_MMFGLC_NTA0_NTB0_NTC0_NTD0_NEPBS0_NLCA1_NLCB1_ONLL1_OPLV0_PK0_PAP0_PGR2_PLR9_SIA3_SS1_SU0_SUM0_SUS0_SCIUI1_SPO0_SRVW0_SSO4_SVW1_SNLL0_TT3_32_TLDS1_UMLDSA1_UMLDSB1_USFGROn1_VAW1_VSn1_VW1_VWB1_VFLRP0_WSGRA1_WSGRB0_WG32_8_1_WGM8:

/******************************************/
/* Asm syntax workarounds                 */
/******************************************/
.macro _v_add_co_u32 dst:req, cc:req, src0:req, src1:req, dpp=
   v_add_co_u32 \dst, \cc, \src0, \src1 \dpp
.endm

.macro _v_add_u32 dst:req, src0:req, src1:req, dpp=
   v_add_u32 \dst, \src0, \src1 \dpp
.endm

.macro _v_add_i32 dst:req, src0:req, src1:req, dpp=
   v_add_i32 \dst, \src0, \src1 \dpp
.endm

.macro _v_addc_co_u32 dst:req, ccOut:req, src0:req, ccIn:req, src1:req, dpp=
   v_addc_co_u32 \dst, \ccOut, \src0, \ccIn, \src1 \dpp
.endm

.macro _v_sub_co_u32 dst:req, cc:req, src0:req, src1:req, dpp=
   v_sub_co_u32 \dst, \cc, \src0, \src1 \dpp
.endm

.macro _v_sub_u32 dst:req, src0:req, src1:req, dpp=
   v_sub_u32 \dst, \src0, \src1 \dpp
.endm

.macro _v_sub_i32 dst:req, src0:req, src1:req, dpp=
   v_sub_i32 \dst, \src0, \src1 \dpp
.endm

.macro _v_add_lshl_u32 dst:req, src0:req, src1:req, shiftCnt:req
    v_add_lshl_u32 \dst, \src0, \src1, \shiftCnt
.endm

.macro _v_lshl_add_u32 dst:req, src0:req, src1:req, shiftCnt:req
    v_lshl_add_u32 \dst, \src0, \src1, \shiftCnt
.endm

.macro _v_lshl_or_b32 dst:req, src0:req, shiftCnt:req, src1:req
    v_lshl_or_b32 \dst, \src0, \shiftCnt, \src1
.endm

.macro _v_dot2acc_f32_f16 dst, src0, src1
v_dot2c_f32_f16 \dst, \src0, \src1
.endm

.macro _v_cmpx_lt_i16 dst, src0, src1=
   v_cmpx_lt_i16 \dst, \src0, \src1 
.endm

.macro _v_cmpx_lt_i32 dst, src0, src1=
   v_cmpx_lt_i32 \dst, \src0, \src1 
.endm

.macro _v_cmpx_lt_i64 dst, src0, src1=
   v_cmpx_lt_i64 \dst, \src0, \src1 
.endm

.macro _v_cmpx_lt_u16 dst, src0, src1=
   v_cmpx_lt_u16 \dst, \src0, \src1 
.endm

.macro _v_cmpx_lt_u32 dst, src0, src1=
   v_cmpx_lt_u32 \dst, \src0, \src1 
.endm

.macro _v_cmpx_lt_u64 dst, src0, src1=
   v_cmpx_lt_u64 \dst, \src0, \src1 
.endm

.macro _v_cmpx_eq_i16 dst, src0, src1=
   v_cmpx_eq_i16 \dst, \src0, \src1 
.endm

.macro _v_cmpx_eq_i32 dst, src0, src1=
   v_cmpx_eq_i32 \dst, \src0, \src1 
.endm

.macro _v_cmpx_eq_i64 dst, src0, src1=
   v_cmpx_eq_i64 \dst, \src0, \src1 
.endm

.macro _v_cmpx_eq_u16 dst, src0, src1=
   v_cmpx_eq_u16 \dst, \src0, \src1 
.endm

.macro _v_cmpx_eq_u32 dst, src0, src1=
   v_cmpx_eq_u32 \dst, \src0, \src1 
.endm

.macro _v_cmpx_eq_u64 dst, src0, src1=
   v_cmpx_eq_u64 \dst, \src0, \src1 
.endm

.macro _v_cmpx_le_i16 dst, src0, src1=
   v_cmpx_le_i16 \dst, \src0, \src1 
.endm

.macro _v_cmpx_le_i32 dst, src0, src1=
   v_cmpx_le_i32 \dst, \src0, \src1 
.endm

.macro _v_cmpx_le_i64 dst, src0, src1=
   v_cmpx_le_i64 \dst, \src0, \src1 
.endm

.macro _v_cmpx_le_u16 dst, src0, src1=
   v_cmpx_le_u16 \dst, \src0, \src1 
.endm

.macro _v_cmpx_le_u32 dst, src0, src1=
   v_cmpx_le_u32 \dst, \src0, \src1 
.endm

.macro _v_cmpx_le_u64 dst, src0, src1=
   v_cmpx_le_u64 \dst, \src0, \src1 
.endm

.macro _v_cmpx_gt_i16 dst, src0, src1=
   v_cmpx_gt_i16 \dst, \src0, \src1 
.endm

.macro _v_cmpx_gt_i32 dst, src0, src1=
   v_cmpx_gt_i32 \dst, \src0, \src1 
.endm

.macro _v_cmpx_gt_i64 dst, src0, src1=
   v_cmpx_gt_i64 \dst, \src0, \src1 
.endm

.macro _v_cmpx_gt_u16 dst, src0, src1=
   v_cmpx_gt_u16 \dst, \src0, \src1 
.endm

.macro _v_cmpx_gt_u32 dst, src0, src1=
   v_cmpx_gt_u32 \dst, \src0, \src1 
.endm

.macro _v_cmpx_gt_u64 dst, src0, src1=
   v_cmpx_gt_u64 \dst, \src0, \src1 
.endm

.macro _v_cmpx_ne_i16 dst, src0, src1=
   v_cmpx_ne_i16 \dst, \src0, \src1 
.endm

.macro _v_cmpx_ne_i32 dst, src0, src1=
   v_cmpx_ne_i32 \dst, \src0, \src1 
.endm

.macro _v_cmpx_ne_i64 dst, src0, src1=
   v_cmpx_ne_i64 \dst, \src0, \src1 
.endm

.macro _v_cmpx_ne_u16 dst, src0, src1=
   v_cmpx_ne_u16 \dst, \src0, \src1 
.endm

.macro _v_cmpx_ne_u32 dst, src0, src1=
   v_cmpx_ne_u32 \dst, \src0, \src1 
.endm

.macro _v_cmpx_ne_u64 dst, src0, src1=
   v_cmpx_ne_u64 \dst, \src0, \src1 
.endm

.macro _v_cmpx_lg_i16 dst, src0, src1=
   v_cmpx_lg_i16 \dst, \src0, \src1 
.endm

.macro _v_cmpx_lg_i32 dst, src0, src1=
   v_cmpx_lg_i32 \dst, \src0, \src1 
.endm

.macro _v_cmpx_lg_i64 dst, src0, src1=
   v_cmpx_lg_i64 \dst, \src0, \src1 
.endm

.macro _v_cmpx_lg_u16 dst, src0, src1=
   v_cmpx_lg_u16 \dst, \src0, \src1 
.endm

.macro _v_cmpx_lg_u32 dst, src0, src1=
   v_cmpx_lg_u32 \dst, \src0, \src1 
.endm

.macro _v_cmpx_lg_u64 dst, src0, src1=
   v_cmpx_lg_u64 \dst, \src0, \src1 
.endm

.macro _v_cmpx_ge_i16 dst, src0, src1=
   v_cmpx_ge_i16 \dst, \src0, \src1 
.endm

.macro _v_cmpx_ge_i32 dst, src0, src1=
   v_cmpx_ge_i32 \dst, \src0, \src1 
.endm

.macro _v_cmpx_ge_i64 dst, src0, src1=
   v_cmpx_ge_i64 \dst, \src0, \src1 
.endm

.macro _v_cmpx_ge_u16 dst, src0, src1=
   v_cmpx_ge_u16 \dst, \src0, \src1 
.endm

.macro _v_cmpx_ge_u32 dst, src0, src1=
   v_cmpx_ge_u32 \dst, \src0, \src1 
.endm

.macro _v_cmpx_ge_u64 dst, src0, src1=
   v_cmpx_ge_u64 \dst, \src0, \src1 
.endm

.macro _v_cmpx_o_i16 dst, src0, src1=
   v_cmpx_o_i16 \dst, \src0, \src1 
.endm

.macro _v_cmpx_o_i32 dst, src0, src1=
   v_cmpx_o_i32 \dst, \src0, \src1 
.endm

.macro _v_cmpx_o_i64 dst, src0, src1=
   v_cmpx_o_i64 \dst, \src0, \src1 
.endm

.macro _v_cmpx_o_u16 dst, src0, src1=
   v_cmpx_o_u16 \dst, \src0, \src1 
.endm

.macro _v_cmpx_o_u32 dst, src0, src1=
   v_cmpx_o_u32 \dst, \src0, \src1 
.endm

.macro _v_cmpx_o_u64 dst, src0, src1=
   v_cmpx_o_u64 \dst, \src0, \src1 
.endm

.macro _v_cmpx_u_i16 dst, src0, src1=
   v_cmpx_u_i16 \dst, \src0, \src1 
.endm

.macro _v_cmpx_u_i32 dst, src0, src1=
   v_cmpx_u_i32 \dst, \src0, \src1 
.endm

.macro _v_cmpx_u_i64 dst, src0, src1=
   v_cmpx_u_i64 \dst, \src0, \src1 
.endm

.macro _v_cmpx_u_u16 dst, src0, src1=
   v_cmpx_u_u16 \dst, \src0, \src1 
.endm

.macro _v_cmpx_u_u32 dst, src0, src1=
   v_cmpx_u_u32 \dst, \src0, \src1 
.endm

.macro _v_cmpx_u_u64 dst, src0, src1=
   v_cmpx_u_u64 \dst, \src0, \src1 
.endm
.macro _v_mac_f32 c:req, a:req, b:req
    v_fmac_f32 \c, \a, \b
.endmacro

/* scale global load macros */
.macro _s_load_b32 dst base offset
    s_load_dword \dst \base \offset
.endm

.macro _s_load_b64 dst base offset
    s_load_dwordx2 \dst \base \offset
.endm

.macro _s_load_b128 dst base offset
    s_load_dwordx4 \dst \base \offset
.endm

.macro _s_load_b256 dst base offset
    s_load_dwordx8 \dst \base \offset
.endm

.macro _s_load_b512 dst base offset
    s_load_dwordx16 \dst \base \offset
.endm


/* ds operation macros */
.macro _ds_load_u8 dst src offset
    ds_read_u8 \dst \src \offset
.endm

.macro _ds_load_u8_d16_hi dst src offset
    ds_read_u8_d16_hi \dst \src \offset
.endm

.macro _ds_load_u16 dst src offset
    ds_read_u16 \dst \src \offset
.endm

.macro _ds_load_u16_d16_hi dst src offset
    ds_read_u16_d16_hi \dst \src \offset
.endm

.macro _ds_load_b32 dst src offset
    ds_read_b32 \dst \src \offset
.endm

.macro _ds_load_b64 dst src offset
    ds_read_b64 \dst \src \offset
.endm

.macro _ds_load_b128 dst src offset
    ds_read_b128 \dst \src \offset
.endm

.macro _ds_store_b8 dst src offset
    ds_write_b8 \dst \src \offset
.endm

.macro _ds_store_b8_d16_hi dst src offset
    ds_write_b8_d16_hi \dst \src \offset
.endm

.macro _ds_store_b16 dst src offset
    ds_write_b16 \dst \src \offset
.endm

.macro _ds_store_b16_d16_hi dst src offset
    ds_write_b16_d16_hi \dst \src \offset
.endm

.macro _ds_store_b32 dst src offset
    ds_write_b32 \dst \src \offset
.endm

.macro _ds_store_b64 dst src offset
    ds_write_b64 \dst \src \offset
.endm

.macro _ds_store_b128 dst src offset
    ds_write_b128 \dst \src \offset
.endm

.macro _ds_load2_b32 dst src offset1 offset2
    ds_read2_b32 \dst \src \offset1 \offset2
.endm

.macro _ds_load2_b64 dst src offset1 offset2
    ds_read2_b64 \dst \src \offset1 \offset2
.endm

.macro _ds_store2_b32 dst src offset1 offset2
    ds_write2_b32 \dst \src \offset1 \offset2
.endm

.macro _ds_store2_b64 dst src offset1 offset2
    ds_write2_b64 \dst \src \offset1 \offset2
.endm


/* buffer memory operation macros */
.macro _buffer_load_b32 dst voffset base soffset offen ioffset md0 md1 md2
    buffer_load_dword \dst \voffset \base \soffset \offen \ioffset \md0 \md1 \md2
.endm

.macro _buffer_load_b64 dst voffset base soffset offen ioffset md0 md1 md2
    buffer_load_dwordx2 \dst \voffset \base \soffset \offen \ioffset \md0 \md1 \md2
.endm

.macro _buffer_load_b96 dst voffset base soffset offen ioffset md0 md1 md2
    buffer_load_dwordx3 \dst \voffset \base \soffset \offen \ioffset \md0 \md1 \md2
.endm

.macro _buffer_load_b128 dst voffset base soffset offen ioffset md0 md1 md2
    buffer_load_dwordx4 \dst \voffset \base \soffset \offen \ioffset \md0 \md1 \md2
.endm

.macro _buffer_load_d16_b16 dst voffset base soffset offen ioffset md0 md1 md2
    buffer_load_short_d16 \dst \voffset \base \soffset \offen \ioffset \md0 \md1 \md2
.endm

.macro _buffer_load_d16_hi_b16 dst voffset base soffset offen ioffset md0 md1 md2
    buffer_load_short_d16_hi \dst \voffset \base \soffset \offen \ioffset \md0 \md1 \md2
.endm

.macro _buffer_load_d16_u8 dst voffset base soffset offen ioffset md0 md1 md2
    buffer_load_ubyte_d16 \dst \voffset \base \soffset \offen \ioffset \md0 \md1 \md2
.endm

.macro _buffer_load_d16_hi_u8 dst voffset base soffset offen ioffset md0 md1 md2
    buffer_load_ubyte_d16_hi \dst \voffset \base \soffset \offen \ioffset \md0 \md1 \md2
.endm

.macro _buffer_load_u16 dst voffset base soffset offen ioffset md0 md1 md2
    buffer_load_ushort \dst \voffset \base \soffset \offen \ioffset \md0 \md1 \md2
.endm

.macro _buffer_load_b32_dtl voffset base soffset offen ioffset md0 md1 md2
    buffer_load_dword \voffset \base \soffset \offen \ioffset \md0 \md1 \md2
.endm

.macro _buffer_load_b64_dtl voffset base soffset offen ioffset md0 md1 md2
    buffer_load_dwordx2 \voffset \base \soffset \offen \ioffset \md0 \md1 \md2
.endm

.macro _buffer_load_b128_dtl voffset base soffset offen ioffset md0 md1 md2
    buffer_load_dwordx4 \voffset \base \soffset \offen \ioffset \md0 \md1 \md2
.endm

.macro _buffer_load_u16_dtl voffset base soffset offen ioffset md0 md1 md2
    buffer_load_ushort \voffset \base \soffset \offen \ioffset \md0 \md1 \md2
.endm

.macro _buffer_store_b32 src voffset base soffset offen ioffset md0 md1 md2
    buffer_store_dword \src \voffset \base \soffset \offen \ioffset \md0 \md1 \md2
.endm

.macro _buffer_store_b64 src voffset base soffset offen ioffset md0 md1 md2
    buffer_store_dwordx2 \src \voffset \base \soffset \offen \ioffset \md0 \md1 \md2
.endm

.macro _buffer_store_b96 src voffset base soffset offen ioffset md0 md1 md2
    buffer_store_dwordx3 \src \voffset \base \soffset \offen \ioffset \md0 \md1 \md2
.endm

.macro _buffer_store_b128 src voffset base soffset offen ioffset md0 md1 md2
    buffer_store_dwordx4 \src \voffset \base \soffset \offen \ioffset \md0 \md1 \md2
.endm

.macro _buffer_store_b16 src voffset base soffset offen ioffset md0 md1 md2
    buffer_store_short \src \voffset \base \soffset \offen \ioffset \md0 \md1 \md2
.endm

.macro _buffer_store_d16_hi_b16 src voffset base soffset offen ioffset md0 md1 md2
    buffer_store_short_d16_hi \src \voffset \base \soffset \offen \ioffset \md0 \md1 \md2
.endm

.macro _buffer_store_b8 src voffset base soffset offen ioffset md0 md1 md2
    buffer_store_byte \src \voffset \base \soffset \offen \ioffset \md0 \md1 \md2
.endm

.macro _buffer_store_d16_hi_b8 src voffset base soffset offen ioffset md0 md1 md2
    buffer_store_byte_d16_hi \src \voffset \base \soffset \offen \ioffset \md0 \md1 \md2
.endm

.macro _buffer_atomic_cmpswap_b32 dst voffset base soffset offen ioffset md0 md1 md2
    buffer_atomic_cmpswap \dst \voffset \base \soffset \offen \ioffset \md0 \md1 \md2
.endm

.macro _buffer_atomic_cmpswap_b64 dst voffset base soffset offen ioffset md0 md1 md2
    buffer_atomic_cmpswap_x2 \dst \voffset \base \soffset \offen \ioffset \md0 \md1 \md2
.endm


/* buffer memory operation macros */
.macro _global_load_b32 dst base src ioffset md0 md1 md2
    global_load_dword \dst \base \src \ioffset \md0 \md1 \md2
.endm

.macro _global_load_b64 dst base src ioffset md0 md1 md2
    global_load_dwordx2 \dst \base \src \ioffset \md0 \md1 \md2
.endm

.macro _global_load_b96 dst base src ioffset md0 md1 md2
    global_load_dwordx3 \dst \base \src \ioffset \md0 \md1 \md2
.endm

.macro _global_load_b128 dst base src ioffset md0 md1 md2
    global_load_dwordx4 \dst \base \src \ioffset \md0 \md1 \md2
.endm

.macro _global_load_d16_b16 dst base src ioffset md0 md1 md2
    global_load_short_d16 \dst \base \src \ioffset \md0 \md1 \md2
.endm

.macro _global_load_d16_hi_b16 dst base src ioffset md0 md1 md2
    global_load_short_d16_hi \dst \base \src \ioffset \md0 \md1 \md2
.endm

.macro _global_load_d16_u8 dst base src ioffset md0 md1 md2
    global_load_ubyte_d16 \dst \base \src \ioffset \md0 \md1 \md2
.endm

.macro _global_load_d16_hi_u8 dst base src ioffset md0 md1 md2
    global_load_ubyte_d16_hi \dst \base \src \ioffset \md0 \md1 \md2
.endm

.macro _global_load_u16 dst base src ioffset md0 md1 md2
    global_load_ushort \dst \base \src \ioffset \md0 \md1 \md2
.endm

.macro _global_store_b32 base src src2 md0 md1 md2
    global_store_dword \base \src \src2 \md0 \md1 \md2
.endm

.macro _global_store_b64 base src src2 md0 md1 md2
    global_store_dwordx2 \base \src \src2 \md0 \md1 \md2
.endm

.macro _global_store_b96 base src src2 md0 md1 md2
    global_store_dwordx3 \base \src \src2 \md0 \md1 \md2
.endm

.macro _global_store_b128 base src src2 md0 md1 md2
    global_store_dwordx4 \base \src \src2 \md0 \md1 \md2
.endm

.macro _global_store_d16_b16 base src src2 md0 md1 md2
    global_store_short \base \src \src2 \md0 \md1 \md2
.endm

.macro _global_store_d16_hi_b16 base src src2 md0 md1 md2
    global_store_short_d16_hi \base \src \src2 \md0 \md1 \md2
.endm

.macro _global_store_d16_u8 base src src2 md0 md1 md2
    global_store_ubyte_d16 \base \src \src2 \md0 \md1 \md2
.endm

.macro _global_store_d16_hi_u8 base src src2 md0 md1 md2
    global_store_ubyte_d16_hi \base \src \src2 \md0 \md1 \md2
.endm

.macro _global_store_u16 base src src2 md0 md1 md2
    global_store_ushort \base \src \src2 \md0 \md1 \md2
.endm

.macro _global_atomic_cmpswap_b32 tmp base data src ioffset md
    global_atomic_cmpswap \tmp \base \data \src \ioffset \md
.endm

.macro _global_atomic_cmpswap_b64 tmp base data src ioffset md
    global_atomic_cmpswap_x2 \tmp \base \data \src \ioffset \md
.endm


/******************************************/
/* Magic div and mod functions            */
/******************************************/
.macro V_MAGIC_DIV dstIdx:req, dividend:req, magicNumber:req, magicShift:req, magicA:req
    v_mul_hi_u32 v[\dstIdx+1], \dividend, \magicNumber
    v_mul_lo_u32 v[\dstIdx+0], \dividend, \magicA
    _v_add_u32 v[\dstIdx+0], v[\dstIdx+0], v[\dstIdx+1]
    v_lshrrev_b32 v[\dstIdx+0], \magicShift, v[\dstIdx+0]
.endm

/******************************************/
/* VGPR Assignments                       */
/******************************************/
/* ValuC range: [0-0), serializedStore enabled */
.set vgprValuC, 0
/* ValuA/B   Xn=PLR buffer idx,  In=InnerUnroll idx */
.set vgprValuA_X0_I0, 0
.set vgprValuA_X1_I0, 6
.set vgprValuA_X2_I0, 12
.set vgprValuA_X3_I0, 18
.set vgprValuA_X4_I0, 24
.set vgprValuA_X5_I0, 30
.set vgprValuA_X6_I0, 36
.set vgprValuA_X7_I0, 42
.set vgprG2LA, 68
.set vgprValuB_X0_I0, 48
.set vgprValuB_X1_I0, 50
.set vgprValuB_X2_I0, 52
.set vgprValuB_X3_I0, 54
.set vgprValuB_X4_I0, 56
.set vgprValuB_X5_I0, 58
.set vgprValuB_X6_I0, 60
.set vgprValuB_X7_I0, 62
.set vgprG2LB, 80
.set vgprLocalWriteAddrA, 64
.set vgprLocalWriteAddrB, 65
.set vgprGlobalReadOffsetA, 66
.set vgprGlobalReadOffsetB, 67
.set vgprLocalReadAddrA, 96
.set vgprLocalReadAddrB, 97
.set vgprSerial, 98
/* Num VGPR=208 */
/* Num AccVGPR=48 */

/******************************************/
/* SGPR Assignments                       */
/******************************************/
.set sgprKernArgAddress, 0 // (2)
.set sgprWorkGroup0, 2 // (1)
.set sgprWorkGroup1, 3 // (1)
.set sgprWorkGroup2, 4 // (1)
.set sgprLoopCounterL, 5 // (1)
.set sgprOrigLoopCounter, 6 // (1)
.set sgprSrdA, 8 // (4)
.set sgprSrdB, 12 // (4)
.set sgprSrdD, 16 // (4)
.set sgprSrdC, 20 // (4)
.set sgprTensor2dSizeA, 24 // (2)
.set sgprTensor2dSizeB, 26 // (2)
.set sgprAddressD, 28 // (2)
.set sgprAddressC, 30 // (2)
.set sgprAddressA, 32 // (2)
.set sgprAddressB, 34 // (2)
.set sgprAlpha, 36 // (1)
.set sgprBeta, 37 // (1)
.set sgprStridesD, 38 // (2)
.set sgprStridesC, 40 // (2)
.set sgprStridesA, 42 // (2)
.set sgprStridesB, 44 // (2)
.set sgprSizesFree, 46 // (3)
.set sgprSizesSum, 49 // (1)
.set sgprNumWorkGroups0, 50 // (1)
.set sgprNumWorkGroups1, 51 // (1)
.set sgprNumFullBlocks, 52 // (1)
.set sgprWgmRemainder1, 53 // (1)
.set sgprMagicNumberWgmRemainder1, 54 // (1)
.set sgprShadowLimitA, 0 // (2)
.set sgprShadowLimitB, 28 // (2)
.set sgprGlobalReadIncsA, 7 // (1)
.set sgprGlobalReadIncsB, 30 // (1)
.set sgprScalarGlobalReadOffsetA, 31 // (2)
.set sgprScalarGlobalReadOffsetB, 33 // (3)
/* max SGPR=62 */

/* Size Assignments */
.set sgprSizeI, sgprSizesFree+0
.set sgprSizeJ, sgprSizesFree+1
.set sgprSizeK, sgprSizesFree+2
.set sgprSizeL, sgprSizesSum+0

/* Stride Assignments */
.set constStrideD0I, 1
.set sgprStrideD1J, sgprStridesD+0
.set sgprStrideDK, sgprStridesD+1
.set constStrideC0I, 1
.set sgprStrideC1J, sgprStridesC+0
.set sgprStrideCK, sgprStridesC+1
.set constStrideAL, 1
.set sgprStrideA0I, sgprStridesA+0
.set sgprStrideAK, sgprStridesA+1
.set constStrideBL, 1
.set sgprStrideB1J, sgprStridesB+0
.set sgprStrideBK, sgprStridesB+1

.set MT0, 96
.set MT1, 128
.set DepthU, 64
.set GSU, 1
.set BpeA, 2
.set BpeALog2, 1
.set BpeB, 2
.set BpeBLog2, 1
/* Number of elements to shift-left SRD */
.set SrdShiftLeftA, 8
.set SrdShiftLeftB, 8
/* 2GB limit - set offsets to -1 to exceed this and clamp */
.set BufferLimitA, 0xffffffff
.set BufferLimitB, 0xffffffff
.set BufferOOB, 0xfffff000

/******************************************/
/* Bits 127:96 of SRD.                    */
/* hex: 0x00020000                        */
/* dst_sel_x (3b): 0                      */
/* dst_sel_y (3b): 0                      */
/* dst_sel_z (3b): 0                      */
/* dst_sel_w (3b): 0                      */
/* num_format (3b): 0                     */
/* data_format (4b): 4                    */
/* user_vm_enable (1b): 0                 */
/* user_vm_mode (1b): 0                   */
/* index_stride (2b): 0                   */
/* add_tid_enable (1b): 0                 */
/* _unusedA (3b): 0                       */
/* nv (1b): 0                             */
/* _unusedB (2b): 0                       */
/* type (2b): 0                           */
/******************************************/
.set Srd127_96, 0x00020000

/* Global Offset A */
.macro GLOBAL_OFFSET_A vgprAddr:req vgprOffsetL:req vgprOffset0I:req vgprTmp:req
v_mul_lo_u32 v[\vgprTmp+0], s[sgprStrideA0I], v[\vgprOffset0I] // mul d1 lower
_v_add_co_u32 v[\vgprAddr+0], vcc, v[\vgprOffsetL], v[\vgprTmp+0] // accumulate K lower
_v_add_u32 v[\vgprAddr+0], 0x8, v[\vgprAddr+0]     // add prepad for pointer shift
v_lshlrev_b32 v[\vgprAddr+0], 0x1, v[\vgprAddr+0]  // offset *= bytes/element
.endm

/* Global Offset B */
.macro GLOBAL_OFFSET_B vgprAddr:req vgprOffsetL:req vgprOffset1J:req vgprTmp:req
v_mul_lo_u32 v[\vgprTmp+0], s[sgprStrideB1J], v[\vgprOffset1J] // mul d1 lower
_v_add_co_u32 v[\vgprAddr+0], vcc, v[\vgprOffsetL], v[\vgprTmp+0] // accumulate K lower
_v_add_u32 v[\vgprAddr+0], 0x8, v[\vgprAddr+0]     // add prepad for pointer shift
v_lshlrev_b32 v[\vgprAddr+0], 0x1, v[\vgprAddr+0]  // offset *= bytes/element
.endm

/******************************************/
/* Dynamic Scalar Divide: vQuotient=vDividend/vDivisor; vRemainder=vDividend%vDivisor; */
/******************************************/
.macro DYNAMIC_VECTOR_DIVIDE vQuotient vRemainder vDividend vDivisor vTmp0 vTmp1 sTmp
v_cvt_f32_u32 v[\vQuotient], v[\vDivisor]          // 
v_rcp_f32 v[\vQuotient], v[\vQuotient]             // 
v_mul_f32 v[\vQuotient], 0x4f800000, v[\vQuotient] // 
v_cvt_u32_f32 v[\vQuotient], v[\vQuotient]         // 
v_mul_lo_u32 v[\vRemainder], v[\vDivisor], v[\vQuotient] // 
v_mul_hi_u32 v[\vTmp0], v[\vDivisor], v[\vQuotient] // 
_v_sub_co_u32 v[\vTmp1], vcc, 0x0, v[\vRemainder]  // 
v_cmp_ne_i32 s[\sTmp:\sTmp+1], 0x0, v[\vTmp0]      // 
v_cndmask_b32 v[\vRemainder], v[\vTmp1], v[\vRemainder], s[\sTmp:\sTmp+1] // 
v_mul_hi_u32 v[\vRemainder], v[\vRemainder], v[\vQuotient] // 
_v_sub_co_u32 v[\vTmp0], vcc, v[\vQuotient], v[\vRemainder] // 
_v_add_co_u32 v[\vQuotient], vcc, v[\vQuotient], v[\vRemainder] // 
v_cndmask_b32 v[\vQuotient], v[\vQuotient], v[\vTmp0], s[\sTmp:\sTmp+1] // 
v_mul_hi_u32 v[\vQuotient], v[\vQuotient], v[\vDividend] // 
v_mul_lo_u32 v[\vRemainder], v[\vQuotient], v[\vDivisor] // 
_v_sub_co_u32 v[\vTmp0], vcc, v[\vDividend], v[\vRemainder] // 
v_cmp_ge_u32 s[\sTmp:\sTmp+1], v[\vDividend], v[\vRemainder] // 
_v_add_co_u32 v[\vRemainder], vcc, 0x1, v[\vQuotient] // 
_v_add_co_u32 v[\vTmp1], vcc, -1, v[\vQuotient]    // 
v_cmp_le_u32 vcc, v[\vDivisor], v[\vTmp0]          // 
s_and_b64 vcc, s[\sTmp:\sTmp+1], vcc               // 
v_cndmask_b32 v[\vQuotient], v[\vQuotient], v[\vRemainder], vcc // 
v_cndmask_b32 v[\vQuotient], v[\vTmp1], v[\vQuotient], s[\sTmp:\sTmp+1] // 
v_cmp_ne_i32 vcc, 0x0, v[\vDivisor]                // 
v_cndmask_b32 v[\vQuotient], -1, v[\vQuotient], vcc // final result
v_mul_lo_u32 v[\vRemainder], v[\vQuotient], v[\vDivisor] // 
_v_sub_co_u32 v[\vRemainder], vcc, v[\vDividend], v[\vRemainder] // final result
.endm


	;; [unrolled: 1-line block ×3, first 2 shown]
/******************************************/
/* Allocate Resources                     */
/******************************************/

Cijk_Alik_Bljk_BBS_BH_MT96x128x64_MI32x32x8x1_SN_1LDSB1_APM1_AF0EM1_AF1EM1_AMAS0_ASGT_ASLT_ASAE01_ASCE01_ASEM1_BL1_BS1_CLR0_DTLA0_DTLB0_DTVA0_DVO0_EPS1_FL0_GLVWA8_GLVWB8_GRVW8_GSU1_GSUASB_GLS0_ISA90a_IU1_K1_KLA_LBSPPA128_LBSPPB128_LPA8_LPB8_LDL1_LRVW8_LDW0_FMA_MIAV0_MMFGLC_NTA0_NTB0_NTC0_NTD0_NEPBS0_NLCA1_NLCB1_ONLL1_OPLV0_PK0_PAP0_PGR2_PLR9_SIA3_SS1_SU0_SUM0_SUS0_SCIUI1_SPO0_SRVW0_SSO4_SVW1_SNLL0_TT3_32_TLDS1_UMLDSA1_UMLDSB1_USFGROn1_VAW1_VSn1_VW1_VWB1_VFLRP0_WSGRA1_WSGRB0_WG32_8_1_WGM8_preloaded: // Kernel start when preloading

/* Load Kernel Args */
_s_load_b512 s[24:39], s[sgprKernArgAddress:sgprKernArgAddress+1], 0x0 // 
_s_load_b256 s[40:47], s[sgprKernArgAddress:sgprKernArgAddress+1], 0x40 // 
_s_load_b128 s[48:51], s[sgprKernArgAddress:sgprKernArgAddress+1], 0x60 // 
_s_load_b64 s[52:53], s[sgprKernArgAddress:sgprKernArgAddress+1], 0x70 // 
_s_load_b32 s54, s[sgprKernArgAddress:sgprKernArgAddress+1], 0x78 // 
s_mov_b32 m0, 0x7e00                               // LDS clamp at 32256 bytes
v_mov_b32 v[vgprSerial], v0                        // thread serial id

/******************************************/
/* Local Read Addresses                   */
/******************************************/


/* local read addresses: tile assignments a/b */

/*lr0I*/
v_and_b32 v1, 63, v[vgprSerial]                    // 0. thread id in wave: wtid = tid % wavelength(64)
v_and_b32 v0, 31, v1                               // 1. N offset: nIdx = wtid % MI_N(32)
v_lshlrev_b32 v0, 0x6, v0                          // 1. N offset: nOffset = nIdx * nStride(64)
                                                   // 2. block offset: bnIdx = bnIdx % num1DBlocks(1) is 0. do nothing
                                                   // 4. apply VectorWidth: bnOffset = bnOffset * vw(1) (multiplier is 1, do nothing)
v_lshrrev_b32 v1, 5, v1                            // 5. K offset: kIdx = wtid / (MIN(32) * MIBB(1))
v_lshlrev_b32 v1, 0x3, v1                          // 5. K offset: lrKOffset = kIdx * mStride(8)
_v_add_u32 v0, v1, v0                              // 6. offset in wave: lrOffset = bnOffset + lrKOffset
/*lr1J*/
v_and_b32 v2, 63, v[vgprSerial]                    // 0. thread id in wave: wtid = tid % wavelength(64)
v_and_b32 v1, 31, v2                               // 1. N offset: nIdx = wtid % MI_N(32)
v_lshlrev_b32 v1, 0x6, v1                          // 1. N offset: nOffset = nIdx * nStride(64)
                                                   // 2. block offset: bnIdx = bnIdx % num1DBlocks(1) is 0. do nothing
                                                   // 4. apply VectorWidth: bnOffset = bnOffset * vw(1) (multiplier is 1, do nothing)
v_lshrrev_b32 v2, 5, v2                            // 5. K offset: kIdx = wtid / (MIN(32) * MIBB(1))
v_lshlrev_b32 v2, 0x3, v2                          // 5. K offset: lrKOffset = kIdx * mStride(8)
_v_add_u32 v1, v2, v1                              // 6. offset in wave: lrOffset = bnOffset + lrKOffset
v_lshrrev_b32 v3, 6, v[vgprSerial]                 // 7. wave offset in N dimen: wtid = tid / dividedForWaveId(64)
v_and_b32 v2, 3, v3                                // 7. wave offset in M dimen: wtid0 = wtid / num1DWaves(4)
v_lshlrev_b32 v2, 0xb, v2                          // 7. wave offset in M dimen: wOffset = wtid0 * W0Stride(2048)
_v_add_u32 v1, v2, v1                              // 8. final local read offset: flrOffset = lrOffset + WOffset


/* local read addresses: final offsets a */

v_lshlrev_b32 v[vgprLocalReadAddrA], 0x1, v0       // Final Offset: offset = (lro0)*bpe
v_lshrrev_b32 v0, 7, v[vgprLocalReadAddrA]         // Final Offset: padding 8 per block 128
v_lshlrev_b32 v0, 0x4, v0                          // Final Offset: padding 8 per block 128
_v_add_u32 v[vgprLocalReadAddrA], v0, v[vgprLocalReadAddrA] // Final Offset: add padding 8 per block 128


/* local read addresses: final offsets b */

v_lshlrev_b32 v[vgprLocalReadAddrB], 0x1, v1       // Final Offset: offset = (lro1)*bpe
v_lshrrev_b32 v0, 7, v[vgprLocalReadAddrB]         // Final Offset: padding 8 per block 128
v_lshlrev_b32 v0, 0x4, v0                          // Final Offset: padding 8 per block 128
_v_add_u32 v[vgprLocalReadAddrB], v0, v[vgprLocalReadAddrB] // Final Offset: add padding 8 per block 128


/* local read addresses: declare addresses a */

/* N/A */


/* local read addresses: declare addresses b */

_v_add_co_u32 v[vgprLocalReadAddrB+0], vcc, 0x3600, v[vgprLocalReadAddrB+0] //  += LdsOffsetB (lower)


/* global read addresses: tile offset assignment a */

/* LVCA = 8 */
/* v0 = (local)groA-tile = serial/LVCA (note (wgA*MTA) will be added to SRD) */
/* v1 = groA-unroll = serial%LVCA */
v_and_b32 v2, 63, v[vgprSerial]                    // v2 = v[vgprSerial] % 64
v_lshrrev_b32 v0, 3, v2                            // v0 = v2 / 8
v_and_b32 v1, 7, v2                                // v1 = v2 % 8
v_readfirstlane_b32 s56, v[vgprSerial]             // WaveIdxWavefrontWidth
s_lshr_b32 s56, s56, 0x6                           // WaveId
s_mul_i32 s56, s56, 24                             // Global Read Wave: each wave loads continuous lsp(8)*nrp(3) columns
_v_add_u32 v0, s56, v0                             // Global Read Wave: add back to column index
/* gro-unroll *= glvw */
v_lshlrev_b32 v1, 0x3, v1                          // v1 = v1 * 8


/* global read addresses: tile offset assignment b */

/* LVCB = 8 */
/* v2 = (local)groB-tile = serial/LVCB (note (wgB*MTB) will be added to SRD) */
/* v3 = groB-unroll = serial%LVCB */
v_lshrrev_b32 v2, 3, v[vgprSerial]                 // v2 = v[vgprSerial] / 8
v_and_b32 v3, 7, v[vgprSerial]                     // v3 = v[vgprSerial] % 8
/* gro-unroll *= glvw */
v_lshlrev_b32 v3, 0x3, v3                          // v3 = v3 * 8


/******************************************/
/* Local Write Addresses                  */
/******************************************/

/* lwaTileAssignmentA = v0 */

/* lwaTileAssignmentB = v2 */

/* lwaUnrollAssignmentA = v1 */

/* lwaUnrollAssignmentB = v3 */


/* local write addresses: first offset a */

v_mul_u32_u24 v[vgprLocalWriteAddrA], 0x40, v0     // lwAL**(DepthU_Compute + PAD)
_v_add_lshl_u32 v[vgprLocalWriteAddrA], v1, v[vgprLocalWriteAddrA], 0x1 // lwFOA = (lwAA + lwAL*(DepthU+PAD))*bpe
v_lshrrev_b32 v4, 7, v[vgprLocalWriteAddrA]        // padding 8 per block 128
v_lshlrev_b32 v4, 0x4, v4                          // padding 8 per block 128
_v_add_u32 v[vgprLocalWriteAddrA], v4, v[vgprLocalWriteAddrA] // add padding 8 per block 128


/* local write addresses: first offset b */

v_mul_u32_u24 v[vgprLocalWriteAddrB], 0x40, v2     // lwBL**(DepthU_Compute + PAD)
_v_add_lshl_u32 v[vgprLocalWriteAddrB], v3, v[vgprLocalWriteAddrB], 0x1 // lwFOB = (lwBB + lwBL*(DepthU+PAD))*bpe
v_lshrrev_b32 v4, 7, v[vgprLocalWriteAddrB]        // padding 8 per block 128
v_lshlrev_b32 v4, 0x4, v4                          // padding 8 per block 128
_v_add_u32 v[vgprLocalWriteAddrB], v4, v[vgprLocalWriteAddrB] // add padding 8 per block 128
_v_add_co_u32 v[vgprLocalWriteAddrB], vcc, 0x3600, v[vgprLocalWriteAddrB] // lwFOB = lwB1J + lwBL*MT1J + LDS_OFFSET_B=6912*2


	;; [unrolled: 1-line block ×7, first 2 shown]
s_waitcnt lgkmcnt(0)                               // wait for 124 bytes of kern args
s_mov_b64 s[sgprSrdC+0:sgprSrdC+0+1], s[sgprAddressC+0:sgprAddressC+0+1] // copy addressC
s_mov_b64 s[sgprSrdD+0:sgprSrdD+0+1], s[sgprAddressD+0:sgprAddressD+0+1] // copy addressD
s_sub_u32 s[sgprSrdA+0], s[sgprAddressA+0], 16     // pre-pad to make room for possible pointer shift
s_subb_u32 s[sgprSrdA+1], s[sgprAddressA+1], 0     // pre-pad to make room for possible pointer shift
s_sub_u32 s[sgprSrdB+0], s[sgprAddressB+0], 16     // pre-pad to make room for possible pointer shift
s_subb_u32 s[sgprSrdB+1], s[sgprAddressB+1], 0     // pre-pad to make room for possible pointer shift

.set AddressD, UNDEF
.set AddressC, UNDEF
.set AddressA, UNDEF
.set AddressB, UNDEF

/* Short circuit condition if Alpha == 0, then sumDims=0 */
v_cmp_eq_f32 vcc, s[sgprAlpha], 0.0                // Alpha == 0.0f ?
s_cbranch_vccz label_AlphaNonZero                  // branch if alpha != 0
s_mov_b32 s[sgprSizesSum+0], 0x0                   // Set summation dim=0 if Alpha == 0
label_AlphaNonZero:



/******************************************/
/* Begin setupNewTile, isPap=False           */
/******************************************/


/* global read addresses: work-group */

/* graWorkGroup mapping */
s_mov_b32 s61, 0x10000001L                         // magic number for WGM==8
s_mul_hi_u32 s59, s[sgprWorkGroup1], s61           // s_magic mul
s_mul_i32 s58, s[sgprWorkGroup1], s61              // s_magic mul
s_lshr_b64 s[58:59], s[58:59], 31                  // sMagicDiv
s_mul_i32 s59, s58, 8                              // quotient * non-magic divisor
s_sub_u32 s59, s[sgprWorkGroup1], s59              // WorkGroup1=remainder
s_mul_i32 s59, s59, s[sgprNumWorkGroups0]          // (wg1 % WGM)*nwg0
s_add_u32 s59, s59, s[sgprWorkGroup0]              // wgSerial = wg0 + (wg1 % WGM)*nwg1
s_cmp_ge_u32 s58, s[sgprNumFullBlocks]             // blockId >= numFullBlocks ?
s_cmov_b32 s61, s[sgprMagicNumberWgmRemainder1]    // 
s_cselect_b32 s60, s[sgprWgmRemainder1], 8         // 
s_mul_hi_u32 s3, s59, s61                          // s_magic mul
s_mul_i32 s2, s59, s61                             // s_magic mul
s_lshr_b64 s[2:3], s[2:3], 31                      // sMagicDiv
s_mul_i32 s[sgprWorkGroup1], s[sgprWorkGroup0], s60 // quotient * non-magic divisor
s_sub_u32 s[sgprWorkGroup1], s59, s[sgprWorkGroup1] // WorkGroup1=remainder
s_mul_i32 s58, s58, 8                              // blockId * WGM
s_add_u32 s[sgprWorkGroup1], s[sgprWorkGroup1], s58 // wg1 += blockId * WGM


/* global read addresses: unroll assignment a */

/* v1 */


/* global read addresses: unroll assignment b */

/* v3 */


/* global read addresses: other free assignments */

/* s[sgprWorkGroup2] */


/* global read addresses: tile offsets a */


	;; [unrolled: 1-line block ×3, first 2 shown]
/* global read addresses: tile offsets b */


	;; [unrolled: 1-line block ×3, first 2 shown]
/* global read addresses: unroll offsets a */


	;; [unrolled: 1-line block ×3, first 2 shown]
/* global read addresses: unroll offsets b */


	;; [unrolled: 1-line block ×3, first 2 shown]
/* global read addresses: final offsets a */

GLOBAL_OFFSET_A vgprGlobalReadOffsetA+0,  1,  0, 4 // gROA_0_0_0_0
s_mul_i32 s[sgprScalarGlobalReadOffsetA+0], s[sgprStrideA0I], 8 // compute offset diff (scaled tileDim)
s_lshl_b32 s[sgprScalarGlobalReadOffsetA+0], s[sgprScalarGlobalReadOffsetA+0], 0x1 // scalar offset *= bytes/element
s_mul_i32 s[sgprScalarGlobalReadOffsetA+1], s[sgprStrideA0I], 16 // compute offset diff (scaled tileDim)
s_lshl_b32 s[sgprScalarGlobalReadOffsetA+1], s[sgprScalarGlobalReadOffsetA+1], 0x1 // scalar offset *= bytes/element


/* global read addresses: final offsets b */

GLOBAL_OFFSET_B vgprGlobalReadOffsetB+0,  3,  2, 4 // gROB_0_0_0_0
s_mul_i32 s[sgprScalarGlobalReadOffsetB+0], s[sgprStrideB1J], 32 // compute offset diff (scaled tileDim)
s_lshl_b32 s[sgprScalarGlobalReadOffsetB+0], s[sgprScalarGlobalReadOffsetB+0], 0x1 // scalar offset *= bytes/element
s_mul_i32 s[sgprScalarGlobalReadOffsetB+1], s[sgprStrideB1J], 64 // compute offset diff (scaled tileDim)
s_lshl_b32 s[sgprScalarGlobalReadOffsetB+1], s[sgprScalarGlobalReadOffsetB+1], 0x1 // scalar offset *= bytes/element
	;; [unrolled: 2-line block ×3, first 2 shown]


/* global read addresses: addresses a */

/* max read offset = size[n] * stride[n-1] */
s_mul_hi_u32 s61, s[sgprWorkGroup0], 96            // WorkGroup[01] * MT
s_mul_i32 s60, s[sgprWorkGroup0], 96               // WorkGroup[01] * MT
s_mul_hi_u32 s61, s60, s[sgprStrideA0I]            // tlu=0, scaled tile-offset by stride
s_mul_i32 s60, s60, s[sgprStrideA0I]               // tlu=0, scaled tile-offset by stride
s_sub_u32 s[sgprShadowLimitA+0], s[sgprTensor2dSizeA], s60 // sub tileStart
s_subb_u32 s[sgprShadowLimitA+1], s[sgprTensor2dSizeA+1], s61 // sub tileStart
s_lshl_b64 s[sgprShadowLimitA:sgprShadowLimitA+1], s[sgprShadowLimitA:sgprShadowLimitA+1], 0x1 // Set limit to use bytes
s_add_u32 s[sgprShadowLimitA+0], s[sgprShadowLimitA+0], 16 // extend limit for pre-pad
s_addc_u32 s[sgprShadowLimitA+1], s[sgprShadowLimitA+1], 0 // extend limit for pre-pad
s_cmp_eq_u32 s[sgprShadowLimitA+1], 0              // are we within 2^32?
s_cselect_b32 s[sgprSrdA+2], s[sgprShadowLimitA+0], BufferLimitA // Move shadow to real if we are within 2^32
s_mul_hi_u32 s59, s[sgprStrideAK], s[sgprWorkGroup2] // Stride*WG
s_mul_i32 s58, s[sgprStrideAK], s[sgprWorkGroup2]  // Stride*WG
s_add_u32 s60, s60, s58                            // accum wg term to tilestart
s_addc_u32 s61, s61, s59                           // accum wg term to tilestart
s_lshl_b64 s[60:61], s[60:61], 0x1                 // tileStart *= BPE
s_add_u32 s[sgprSrdA+0], s[sgprSrdA+0], s60        // SRD base = Address+ tileStart0
s_addc_u32 s[sgprSrdA+1], s[sgprSrdA+1], s61       // SRD base = Address+ tileStart1
s_mov_b32 s[sgprSrdA+3], Srd127_96                 // Set bits 127_96 in SRD


/* global read addresses: addresses b */

/* max read offset = size[n] * stride[n-1] */
s_mul_hi_u32 s61, s[sgprWorkGroup1], 128           // WorkGroup[01] * MT
s_mul_i32 s60, s[sgprWorkGroup1], 128              // WorkGroup[01] * MT
s_mul_hi_u32 s61, s60, s[sgprStrideB1J]            // tlu=0, scaled tile-offset by stride
s_mul_i32 s60, s60, s[sgprStrideB1J]               // tlu=0, scaled tile-offset by stride
s_sub_u32 s[sgprShadowLimitB+0], s[sgprTensor2dSizeB], s60 // sub tileStart
s_subb_u32 s[sgprShadowLimitB+1], s[sgprTensor2dSizeB+1], s61 // sub tileStart
s_lshl_b64 s[sgprShadowLimitB:sgprShadowLimitB+1], s[sgprShadowLimitB:sgprShadowLimitB+1], 0x1 // Set limit to use bytes
s_add_u32 s[sgprShadowLimitB+0], s[sgprShadowLimitB+0], 16 // extend limit for pre-pad
s_addc_u32 s[sgprShadowLimitB+1], s[sgprShadowLimitB+1], 0 // extend limit for pre-pad
s_cmp_eq_u32 s[sgprShadowLimitB+1], 0              // are we within 2^32?
s_cselect_b32 s[sgprSrdB+2], s[sgprShadowLimitB+0], BufferLimitB // Move shadow to real if we are within 2^32
s_mul_hi_u32 s59, s[sgprStrideBK], s[sgprWorkGroup2] // Stride*WG
s_mul_i32 s58, s[sgprStrideBK], s[sgprWorkGroup2]  // Stride*WG
s_add_u32 s60, s60, s58                            // accum wg term to tilestart
s_addc_u32 s61, s61, s59                           // accum wg term to tilestart
s_lshl_b64 s[60:61], s[60:61], 0x1                 // tileStart *= BPE
s_add_u32 s[sgprSrdB+0], s[sgprSrdB+0], s60        // SRD base = Address+ tileStart0
s_addc_u32 s[sgprSrdB+1], s[sgprSrdB+1], s61       // SRD base = Address+ tileStart1
s_mov_b32 s[sgprSrdB+3], Srd127_96                 // Set bits 127_96 in SRD


/* global read addresses: increments a */

s_mov_b32 s[sgprGlobalReadIncsA+0], DepthU*BpeA    // incrA (unrollIdx)


/* global read addresses: increments b */

s_mov_b32 s[sgprGlobalReadIncsB+0], DepthU*BpeB    // incrB (unrollIdx)

/* declare loop num iterations */


s_lshr_b32 s[sgprLoopCounterL], s[sgprSizesSum+0], 6 // s[sgprLoopCounterL] = s[sgprSizesSum+0] / 64
s_mov_b32 s[sgprOrigLoopCounter], s[sgprLoopCounterL] // copy loop counter

/* local read addresses: init pointers a */


/* localReadInitPointers */

/* local read addresses: init pointers b */


/* localReadInitPointers */


/* prefetch: global -> local */

s_cmp_eq_u32 s[sgprLoopCounterL], 0                // at last iteration?
s_cbranch_scc1 ShadowInitStart_10                  // skip to ShadowInitStart iter b/c numIter==0


_buffer_load_b128 v[vgprG2LA+0:vgprG2LA+0+3], v[vgprGlobalReadOffsetA+0], s[sgprSrdA:sgprSrdA+3], 0, offen offset:0 // G -> Reg 0_0_0_0
_buffer_load_b128 v[vgprG2LA+4:vgprG2LA+4+3], v[vgprGlobalReadOffsetA+0], s[sgprSrdA:sgprSrdA+3], s[sgprScalarGlobalReadOffsetA+0], offen offset:0 // G -> Reg 0_0_1_0
_buffer_load_b128 v[vgprG2LA+8:vgprG2LA+8+3], v[vgprGlobalReadOffsetA+0], s[sgprSrdA:sgprSrdA+3], s[sgprScalarGlobalReadOffsetA+1], offen offset:0 // G -> Reg 0_0_2_0


_buffer_load_b128 v[vgprG2LB+0:vgprG2LB+0+3], v[vgprGlobalReadOffsetB+0], s[sgprSrdB:sgprSrdB+3], 0, offen offset:0 // G -> Reg 0_0_0_0
_buffer_load_b128 v[vgprG2LB+4:vgprG2LB+4+3], v[vgprGlobalReadOffsetB+0], s[sgprSrdB:sgprSrdB+3], s[sgprScalarGlobalReadOffsetB+0], offen offset:0 // G -> Reg 0_0_1_0
_buffer_load_b128 v[vgprG2LB+8:vgprG2LB+8+3], v[vgprGlobalReadOffsetB+0], s[sgprSrdB:sgprSrdB+3], s[sgprScalarGlobalReadOffsetB+1], offen offset:0 // G -> Reg 0_0_2_0
_buffer_load_b128 v[vgprG2LB+12:vgprG2LB+12+3], v[vgprGlobalReadOffsetB+0], s[sgprSrdB:sgprSrdB+3], s[sgprScalarGlobalReadOffsetB+2], offen offset:0 // G -> Reg 0_0_3_0


/* global read inc A loopL */
s_add_u32 s[sgprSrdA+0], s[sgprSrdA+0], s[sgprGlobalReadIncsA+0] // gra SRD += inc(lower)
s_addc_u32  s[sgprSrdA+1], s[sgprSrdA+1], 0        // gra SRD += inc(upper)
s_sub_u32 s[sgprShadowLimitA+0], s[sgprShadowLimitA+0], s[sgprGlobalReadIncsA+0] // limit -= inc)
s_subb_u32 s[sgprShadowLimitA+1], s[sgprShadowLimitA+1], 0 // limit -= inc)
s_cmp_eq_u32 s[sgprShadowLimitA+1], 0              // are we within 2^32?
s_cmov_b32 s[sgprSrdA+2], s[sgprShadowLimitA+0]    // Move shadow to real if we are within 2^32

/* global read inc B loopL */
s_add_u32 s[sgprSrdB+0], s[sgprSrdB+0], s[sgprGlobalReadIncsB+0] // gra SRD += inc(lower)
s_addc_u32  s[sgprSrdB+1], s[sgprSrdB+1], 0        // gra SRD += inc(upper)
s_sub_u32 s[sgprShadowLimitB+0], s[sgprShadowLimitB+0], s[sgprGlobalReadIncsB+0] // limit -= inc)
s_subb_u32 s[sgprShadowLimitB+1], s[sgprShadowLimitB+1], 0 // limit -= inc)
s_cmp_eq_u32 s[sgprShadowLimitB+1], 0              // are we within 2^32?
s_cmov_b32 s[sgprSrdB+2], s[sgprShadowLimitB+0]    // Move shadow to real if we are within 2^32


/******************************************/
/* End setupNewTile, isPap=False             */
/******************************************/

ShadowInitStart_10: // 

s_mov_b32 s[sgprSrdD+2], BufferOOB                 // 
s_mov_b32 s[sgprSrdD+3], Srd127_96                 // Set bits 127_96 in post-loop SRD

s_mov_b32 s[sgprSrdC+2], BufferOOB                 // 
s_mov_b32 s[sgprSrdC+3], Srd127_96                 // Set bits 127_96 in post-loop SRD


s_mul_i32 s58, MT1, s[sgprWorkGroup1]              // <- wg1*MT1
s_mul_hi_u32 s57, s58, s[sgprStrideC1J]            // CScale s58 by Stride
s_mul_i32 s56, s58, s[sgprStrideC1J]               // CScale s58 by Stride
s_lshl_b64 s[56:57], s[56:57], 1                   // scale by bpe
s_add_u32 s[sgprSrdC+0], s[sgprSrdC+0], s56        // add lo to SRD
s_addc_u32 s[sgprSrdC+1], s[sgprSrdC+1], s57       // add hi to SRD
s_mul_hi_u32 s57, s58, s[sgprStrideD1J]            // Scale s58 by Stride
s_mul_i32 s56, s58, s[sgprStrideD1J]               // Scale s58 by Stride
s_lshl_b64 s[56:57], s[56:57], 1                   // scale by bpe
s_add_u32 s[sgprSrdD+0], s[sgprSrdD+0], s56        // add lo to SRD
s_addc_u32 s[sgprSrdD+1], s[sgprSrdD+1], s57       // add hi to SRD

s_mul_hi_u32 s57, s[sgprWorkGroup2], s[sgprStrideCK] // CScale s[sgprWorkGroup2] by Stride
s_mul_i32 s56, s[sgprWorkGroup2], s[sgprStrideCK]  // CScale s[sgprWorkGroup2] by Stride
s_lshl_b64 s[56:57], s[56:57], 1                   // scale by bpe
s_add_u32 s[sgprSrdC+0], s[sgprSrdC+0], s56        // add lo to SRD
s_addc_u32 s[sgprSrdC+1], s[sgprSrdC+1], s57       // add hi to SRD
s_mul_hi_u32 s57, s[sgprWorkGroup2], s[sgprStrideDK] // Scale s[sgprWorkGroup2] by Stride
s_mul_i32 s56, s[sgprWorkGroup2], s[sgprStrideDK]  // Scale s[sgprWorkGroup2] by Stride
s_lshl_b64 s[56:57], s[56:57], 1                   // scale by bpe
s_add_u32 s[sgprSrdD+0], s[sgprSrdD+0], s56        // add lo to SRD
s_addc_u32 s[sgprSrdD+1], s[sgprSrdD+1], s57       // add hi to SRD


	;; [unrolled: 1-line block ×3, first 2 shown]
/* initC: remove C-tile 0-0 from pool */

/* initC: remove AB-tile 0-64 from pool */
v_accvgpr_write acc0, 0x0                          // initC
v_accvgpr_write acc1, 0x0                          // initC
v_accvgpr_write acc2, 0x0                          // initC
v_accvgpr_write acc3, 0x0                          // initC
v_accvgpr_write acc4, 0x0                          // initC
v_accvgpr_write acc5, 0x0                          // initC
v_accvgpr_write acc6, 0x0                          // initC
v_accvgpr_write acc7, 0x0                          // initC
v_accvgpr_write acc8, 0x0                          // initC
v_accvgpr_write acc9, 0x0                          // initC
v_accvgpr_write acc10, 0x0                         // initC
v_accvgpr_write acc11, 0x0                         // initC
v_accvgpr_write acc12, 0x0                         // initC
v_accvgpr_write acc13, 0x0                         // initC
v_accvgpr_write acc14, 0x0                         // initC
v_accvgpr_write acc15, 0x0                         // initC
v_accvgpr_write acc16, 0x0                         // initC
v_accvgpr_write acc17, 0x0                         // initC
v_accvgpr_write acc18, 0x0                         // initC
v_accvgpr_write acc19, 0x0                         // initC
v_accvgpr_write acc20, 0x0                         // initC
v_accvgpr_write acc21, 0x0                         // initC
v_accvgpr_write acc22, 0x0                         // initC
v_accvgpr_write acc23, 0x0                         // initC
v_accvgpr_write acc24, 0x0                         // initC
v_accvgpr_write acc25, 0x0                         // initC
v_accvgpr_write acc26, 0x0                         // initC
v_accvgpr_write acc27, 0x0                         // initC
v_accvgpr_write acc28, 0x0                         // initC
v_accvgpr_write acc29, 0x0                         // initC
v_accvgpr_write acc30, 0x0                         // initC
v_accvgpr_write acc31, 0x0                         // initC
v_accvgpr_write acc32, 0x0                         // initC
v_accvgpr_write acc33, 0x0                         // initC
v_accvgpr_write acc34, 0x0                         // initC
v_accvgpr_write acc35, 0x0                         // initC
v_accvgpr_write acc36, 0x0                         // initC
v_accvgpr_write acc37, 0x0                         // initC
v_accvgpr_write acc38, 0x0                         // initC
v_accvgpr_write acc39, 0x0                         // initC
v_accvgpr_write acc40, 0x0                         // initC
v_accvgpr_write acc41, 0x0                         // initC
v_accvgpr_write acc42, 0x0                         // initC
v_accvgpr_write acc43, 0x0                         // initC
v_accvgpr_write acc44, 0x0                         // initC
v_accvgpr_write acc45, 0x0                         // initC
v_accvgpr_write acc46, 0x0                         // initC
v_accvgpr_write acc47, 0x0                         // initC

s_cmp_eq_u32 s[sgprLoopCounterL], 0                // at last iteration?

/* after InitC, skip to end of prefetch last iter if numIter==0 */
s_cbranch_scc0 label_NoBranch_11                   // Only branch on scc1
s_getpc_B64 s[56:57]                               // addr of next instr
s_add_i32 s58, PrefetchGlobalLastIterEnd_5, 0x4    // target branch offset
s_add_u32 s56, s56, s58                            // add target branch offset
s_addc_u32 s57, s57, 0                             // add high and carry
s_setpc_b64 s[56:57]                               // branch to PrefetchGlobalLastIterEnd_5
label_NoBranch_11:

s_waitcnt vmcnt(0)                                 // lgkmcnt=-1 vmcnt=0 8wait for global read


/* local write a */
_ds_store_b128 v[vgprLocalWriteAddrA], v[vgprG2LA+0:vgprG2LA+0+3] offset:0 // lwoA_0_0_0_0 = (0*LSCA)*(MT0I+PAD) + (0*LSPA) = 0
_ds_store_b128 v[vgprLocalWriteAddrA], v[vgprG2LA+4:vgprG2LA+4+3] offset:1152 // lwoA_0_0_1_0 = (0*LSCA)*(MT0I+PAD) + (1*LSPA) = 1152
_ds_store_b128 v[vgprLocalWriteAddrA], v[vgprG2LA+8:vgprG2LA+8+3] offset:2304 // lwoA_0_0_2_0 = (0*LSCA)*(MT0I+PAD) + (2*LSPA) = 2304

/* local write b */
_ds_store_b128 v[vgprLocalWriteAddrB], v[vgprG2LB+0:vgprG2LB+0+3] offset:0 // lwoB_0_0_0_0 = (0*LSCB)*(MT1J+PAD) + (0*LSPB) = 0
_ds_store_b128 v[vgprLocalWriteAddrB], v[vgprG2LB+4:vgprG2LB+4+3] offset:4608 // lwoB_0_0_1_0 = (0*LSCB)*(MT1J+PAD) + (1*LSPB) = 4608
_ds_store_b128 v[vgprLocalWriteAddrB], v[vgprG2LB+8:vgprG2LB+8+3] offset:9216 // lwoB_0_0_2_0 = (0*LSCB)*(MT1J+PAD) + (2*LSPB) = 9216
_ds_store_b128 v[vgprLocalWriteAddrB], v[vgprG2LB+12:vgprG2LB+12+3] offset:13824 // lwoB_0_0_3_0 = (0*LSCB)*(MT1J+PAD) + (3*LSPB) = 13824


/* local write swap a */


	;; [unrolled: 1-line block ×3, first 2 shown]
/* local write swap b */


	;; [unrolled: 1-line block ×4, first 2 shown]
s_cmp_eq_u32 s[sgprLoopCounterL] 0x1               // PGR=2 but only 1 loop
s_cbranch_scc1 label_0012                          // PGR=2 but only 1 loop


_buffer_load_b128 v[vgprG2LA+0:vgprG2LA+0+3], v[vgprGlobalReadOffsetA+0], s[sgprSrdA:sgprSrdA+3], 0, offen offset:0 // G -> Reg 0_0_0_0
_buffer_load_b128 v[vgprG2LA+4:vgprG2LA+4+3], v[vgprGlobalReadOffsetA+0], s[sgprSrdA:sgprSrdA+3], s[sgprScalarGlobalReadOffsetA+0], offen offset:0 // G -> Reg 0_0_1_0
_buffer_load_b128 v[vgprG2LA+8:vgprG2LA+8+3], v[vgprGlobalReadOffsetA+0], s[sgprSrdA:sgprSrdA+3], s[sgprScalarGlobalReadOffsetA+1], offen offset:0 // G -> Reg 0_0_2_0


_buffer_load_b128 v[vgprG2LB+0:vgprG2LB+0+3], v[vgprGlobalReadOffsetB+0], s[sgprSrdB:sgprSrdB+3], 0, offen offset:0 // G -> Reg 0_0_0_0
_buffer_load_b128 v[vgprG2LB+4:vgprG2LB+4+3], v[vgprGlobalReadOffsetB+0], s[sgprSrdB:sgprSrdB+3], s[sgprScalarGlobalReadOffsetB+0], offen offset:0 // G -> Reg 0_0_1_0
_buffer_load_b128 v[vgprG2LB+8:vgprG2LB+8+3], v[vgprGlobalReadOffsetB+0], s[sgprSrdB:sgprSrdB+3], s[sgprScalarGlobalReadOffsetB+1], offen offset:0 // G -> Reg 0_0_2_0
_buffer_load_b128 v[vgprG2LB+12:vgprG2LB+12+3], v[vgprGlobalReadOffsetB+0], s[sgprSrdB:sgprSrdB+3], s[sgprScalarGlobalReadOffsetB+2], offen offset:0 // G -> Reg 0_0_3_0

label_0012:                                        // 

s_waitcnt lgkmcnt(0)                               // lgkmcnt=0 vmcnt=-10prefetch wait for local write

// Skip force waitcnt0
s_barrier //


/* local read prefetch a */

_ds_load_b128 v[vgprValuA_X0_I0+0:vgprValuA_X0_I0+0+3], v[vgprLocalReadAddrA] offset:0 // L -> Reg lro=0 swapByteOffset=0 ti=32 vIdx=0 rIdx=0 oIdx=0 buffer=0 iui=0
_ds_load_b128 v[vgprValuA_X0_I0+4:vgprValuA_X0_I0+4+3], v[vgprLocalReadAddrA] offset:4608 // L -> Reg lro=0 swapByteOffset=0 ti=32 vIdx=1 rIdx=0 oIdx=0 buffer=0 iui=0
	;; [unrolled: 1-line block ×3, first 2 shown]


/* local read prefetch b */

_ds_load_b128 v[vgprValuB_X0_I0+0:vgprValuB_X0_I0+0+3], v[vgprLocalReadAddrB] offset:0 // L -> Reg lro=0 swapByteOffset=0 ti=128 vIdx=0 rIdx=0 oIdx=0 buffer=0 iui=0


/* local read inc a */

/* N/A, lro->16 */
/* self.localReadDoCntA 1 self.localReadDoCntB 1 */


/* local read inc b */

/* N/A, lro->16 */
/* self.localReadDoCntA 1 self.localReadDoCntB 1 */



/******************************************/
/* Unrolled Loop(s) - Begin               */
/******************************************/

openLoopL_13:
s_cmp_eq_u32 s[sgprLoopCounterL], 0x1              // LoopCounterL < EndCounter
s_cbranch_scc1 label_0014                          // PGR=2 but only 1 loop, toPGR1
s_cmp_le_u32 s[sgprLoopCounterL], 0x2              // LoopCounterL < EndCounter
s_cbranch_scc1 LoopEndL_evenexit_4                 // do not enter LoopL
LoopBeginL_1:


/******************************************/
/* Unrolled Loop 1/2 - Begin              */
/******************************************/

label_0015: // LoopCopy1 


/* Begin Each Unroll: Check VGPR.checkin for INT8 LW */


	;; [unrolled: 1-line block ×3, first 2 shown]
/* iter 0 */

/*  grEndMfmaIndex:2, lwStartMfmaIndex:8, lwEndMfmaIndex:20  */
/*  numMfmaForLR:2, barrierMfmaIndex:21, LocalWritePerMfma:0.540 */
/*  mfmaIndex:0  */
s_waitcnt lgkmcnt(0)                               // lgkmcnt=0 vmcnt=-1wait for prior local read local write old=0, new=0 newLW=0 newLR=0
v_mfma_f32_32x32x8bf16_1k a[0+0:15+0], v[vgprValuB_X0_I0+0+0+0:vgprValuB_X0_I0+0+0+0+1], v[vgprValuA_X0_I0+0+0+0:vgprValuA_X0_I0+0+0+0+1], a[0:15]
/*  mfmaIndex:1  */
_ds_load_b128 v[vgprValuA_X2_I0+0:vgprValuA_X2_I0+0+3], v[vgprLocalReadAddrA] offset:32 // L -> Reg lro=16 swapByteOffset=0 ti=32 vIdx=0 rIdx=0 oIdx=0 buffer=2 iui=0
_ds_load_b128 v[vgprValuB_X2_I0+0:vgprValuB_X2_I0+0+3], v[vgprLocalReadAddrB] offset:32 // L -> Reg lro=16 swapByteOffset=0 ti=128 vIdx=0 rIdx=0 oIdx=0 buffer=2 iui=0
_ds_load_b128 v[vgprValuA_X2_I0+4:vgprValuA_X2_I0+4+3], v[vgprLocalReadAddrA] offset:4640 // L -> Reg lro=16 swapByteOffset=0 ti=32 vIdx=1 rIdx=0 oIdx=0 buffer=2 iui=0

/* global read inc A loopL */
s_add_u32 s[sgprSrdA+0], s[sgprSrdA+0], s[sgprGlobalReadIncsA+0] // gra SRD += inc(lower)
s_addc_u32  s[sgprSrdA+1], s[sgprSrdA+1], 0        // gra SRD += inc(upper)
s_sub_u32 s[sgprShadowLimitA+0], s[sgprShadowLimitA+0], s[sgprGlobalReadIncsA+0] // limit -= inc)
s_subb_u32 s[sgprShadowLimitA+1], s[sgprShadowLimitA+1], 0 // limit -= inc)
s_cmp_eq_u32 s[sgprShadowLimitA+1], 0              // are we within 2^32?
s_cmov_b32 s[sgprSrdA+2], s[sgprShadowLimitA+0]    // Move shadow to real if we are within 2^32

/* global read inc B loopL */
s_add_u32 s[sgprSrdB+0], s[sgprSrdB+0], s[sgprGlobalReadIncsB+0] // gra SRD += inc(lower)
v_mfma_f32_32x32x8bf16_1k a[16+0:31+0], v[vgprValuB_X0_I0+0+0+0:vgprValuB_X0_I0+0+0+0+1], v[vgprValuA_X0_I0+4+0+0:vgprValuA_X0_I0+4+0+0+1], a[16:31]
/*  mfmaIndex:2  */
_ds_load_b128 v[vgprValuA_X2_I0+8:vgprValuA_X2_I0+8+3], v[vgprLocalReadAddrA] offset:9248 // L -> Reg lro=16 swapByteOffset=0 ti=32 vIdx=2 rIdx=0 oIdx=0 buffer=2 iui=0
/* localReadsVacancy: latencyLeft 9 */
_ds_load_b128 v[vgprValuA_X4_I0+0:vgprValuA_X4_I0+0+3], v[vgprLocalReadAddrA] offset:64 // L -> Reg lro=32 swapByteOffset=0 ti=32 vIdx=0 rIdx=0 oIdx=0 buffer=4 iui=0
_ds_load_b128 v[vgprValuB_X4_I0+0:vgprValuB_X4_I0+0+3], v[vgprLocalReadAddrB] offset:64 // L -> Reg lro=32 swapByteOffset=0 ti=128 vIdx=0 rIdx=0 oIdx=0 buffer=4 iui=0
s_addc_u32  s[sgprSrdB+1], s[sgprSrdB+1], 0        // gra SRD += inc(upper)
s_sub_u32 s[sgprShadowLimitB+0], s[sgprShadowLimitB+0], s[sgprGlobalReadIncsB+0] // limit -= inc)
s_subb_u32 s[sgprShadowLimitB+1], s[sgprShadowLimitB+1], 0 // limit -= inc)
s_cmp_eq_u32 s[sgprShadowLimitB+1], 0              // are we within 2^32?
s_cmov_b32 s[sgprSrdB+2], s[sgprShadowLimitB+0]    // Move shadow to real if we are within 2^32
v_mfma_f32_32x32x8bf16_1k a[32+0:47+0], v[vgprValuB_X0_I0+0+0+0:vgprValuB_X0_I0+0+0+0+1], v[vgprValuA_X0_I0+8+0+0:vgprValuA_X0_I0+8+0+0+1], a[32:47]
/* numPrefetchIter=0 */
/* dataAtIterA=-1 numReadsIterA=1 skipReadsIterA=1 readsPerIterA=3 */
/* dataAtIterB=-1 numReadsIterB=1 skipReadsIterB=1 readsPerIterB=1 */


/* iter 1 */

/*  grEndMfmaIndex:2, lwStartMfmaIndex:8, lwEndMfmaIndex:20  */
/*  numMfmaForLR:2, barrierMfmaIndex:21, LocalWritePerMfma:0.540 */
/*  mfmaIndex:3  */
_ds_load_b128 v[vgprValuA_X4_I0+4:vgprValuA_X4_I0+4+3], v[vgprLocalReadAddrA] offset:4672 // L -> Reg lro=32 swapByteOffset=0 ti=32 vIdx=1 rIdx=0 oIdx=0 buffer=4 iui=0
_ds_load_b128 v[vgprValuA_X4_I0+8:vgprValuA_X4_I0+8+3], v[vgprLocalReadAddrA] offset:9280 // L -> Reg lro=32 swapByteOffset=0 ti=32 vIdx=2 rIdx=0 oIdx=0 buffer=4 iui=0
/* localReadsVacancy: latencyLeft 5 */
_ds_load_b128 v[vgprValuA_X6_I0+0:vgprValuA_X6_I0+0+3], v[vgprLocalReadAddrA] offset:96 // L -> Reg lro=48 swapByteOffset=0 ti=32 vIdx=0 rIdx=0 oIdx=0 buffer=6 iui=0
s_waitcnt lgkmcnt(9)                               // lgkmcnt=0 vmcnt=-1wait for prior local read local write old=2, new=8 newLW=0 newLR=6
v_mfma_f32_32x32x8bf16_1k a[0+0:15+0], v[vgprValuB_X0_I0+0+2+0:vgprValuB_X0_I0+0+2+0+1], v[vgprValuA_X0_I0+0+2+0:vgprValuA_X0_I0+0+2+0+1], a[0:15]
/*  mfmaIndex:4  */
/* localReadsVacancy: latencyLeft 13 */
_ds_load_b128 v[vgprValuB_X6_I0+0:vgprValuB_X6_I0+0+3], v[vgprLocalReadAddrB] offset:96 // L -> Reg lro=48 swapByteOffset=0 ti=128 vIdx=0 rIdx=0 oIdx=0 buffer=6 iui=0
_ds_load_b128 v[vgprValuA_X6_I0+4:vgprValuA_X6_I0+4+3], v[vgprLocalReadAddrA] offset:4704 // L -> Reg lro=48 swapByteOffset=0 ti=32 vIdx=1 rIdx=0 oIdx=0 buffer=6 iui=0
_ds_load_b128 v[vgprValuA_X6_I0+8:vgprValuA_X6_I0+8+3], v[vgprLocalReadAddrA] offset:9312 // L -> Reg lro=48 swapByteOffset=0 ti=32 vIdx=2 rIdx=0 oIdx=0 buffer=6 iui=0
v_mfma_f32_32x32x8bf16_1k a[16+0:31+0], v[vgprValuB_X0_I0+0+2+0:vgprValuB_X0_I0+0+2+0+1], v[vgprValuA_X0_I0+4+2+0:vgprValuA_X0_I0+4+2+0+1], a[16:31]
/*  mfmaIndex:5  */
/* localReadsVacancy: latencyLeft 13 */
v_mfma_f32_32x32x8bf16_1k a[32+0:47+0], v[vgprValuB_X0_I0+0+2+0:vgprValuB_X0_I0+0+2+0+1], v[vgprValuA_X0_I0+8+2+0:vgprValuA_X0_I0+8+2+0+1], a[32:47]
/* numPrefetchIter=0 */
/* dataAtIterA=-1 numReadsIterA=2 skipReadsIterA=2 readsPerIterA=3 */
/* dataAtIterB=-1 numReadsIterB=2 skipReadsIterB=2 readsPerIterB=1 */


/* iter 2 */

/*  grEndMfmaIndex:2, lwStartMfmaIndex:8, lwEndMfmaIndex:20  */
/*  numMfmaForLR:2, barrierMfmaIndex:21, LocalWritePerMfma:0.540 */
/*  mfmaIndex:6  */
/* localReadsVacancy: latencyLeft 13 */
s_waitcnt lgkmcnt(8)                               // lgkmcnt=0 vmcnt=-1wait for prior local read local write old=4, new=8 newLW=0 newLR=4
v_mfma_f32_32x32x8bf16_1k a[0+0:15+0], v[vgprValuB_X2_I0+0+0+0:vgprValuB_X2_I0+0+0+0+1], v[vgprValuA_X2_I0+0+0+0:vgprValuA_X2_I0+0+0+0+1], a[0:15]
/*  mfmaIndex:7  */
/* localReadsVacancy: latencyLeft 13 */
/* 1 LDS buffer: read-sync-write */
s_waitcnt lgkmcnt(0)                               // 
s_barrier                                          // 
v_mfma_f32_32x32x8bf16_1k a[16+0:31+0], v[vgprValuB_X2_I0+0+0+0:vgprValuB_X2_I0+0+0+0+1], v[vgprValuA_X2_I0+4+0+0:vgprValuA_X2_I0+4+0+0+1], a[16:31]
/*  mfmaIndex:8  */
/* localReadsVacancy: latencyLeft 3 */
/* sched write - iter 2 writesPerItem=1 */
s_waitcnt vmcnt(0)                                 // lgkmcnt=-1 vmcnt=0wait for global read before writing to local
_ds_store_b128 v[vgprLocalWriteAddrA], v[vgprG2LA+0:vgprG2LA+0+3] offset:0 // lwoA_0_0_0_0 = (0*LSCA)*(MT0I+PAD) + (0*LSPA) = 0
v_mfma_f32_32x32x8bf16_1k a[32+0:47+0], v[vgprValuB_X2_I0+0+0+0:vgprValuB_X2_I0+0+0+0+1], v[vgprValuA_X2_I0+8+0+0:vgprValuA_X2_I0+8+0+0+1], a[32:47]
/* numPrefetchIter=0 */
/* dataAtIterA=0 numReadsIterA=3 skipReadsIterA=2 readsPerIterA=3 */
/* dataAtIterB=0 numReadsIterB=3 skipReadsIterB=2 readsPerIterB=1 */


/* iter 3 */

/*  grEndMfmaIndex:2, lwStartMfmaIndex:8, lwEndMfmaIndex:20  */
/*  numMfmaForLR:2, barrierMfmaIndex:21, LocalWritePerMfma:0.540 */
/*  mfmaIndex:9  */
_buffer_load_b128 v[vgprG2LA+0:vgprG2LA+0+3], v[vgprGlobalReadOffsetA+0], s[sgprSrdA:sgprSrdA+3], 0, offen offset:0 // G -> Reg 0_0_0_0
/* sched write - iter 3 writesPerItem=1 */
s_waitcnt vmcnt(0)                                 // lgkmcnt=-1 vmcnt=0wait for global read before writing to local
_ds_store_b128 v[vgprLocalWriteAddrA], v[vgprG2LA+4:vgprG2LA+4+3] offset:1152 // lwoA_0_0_1_0 = (0*LSCA)*(MT0I+PAD) + (1*LSPA) = 1152
v_mfma_f32_32x32x8bf16_1k a[0+0:15+0], v[vgprValuB_X2_I0+0+2+0:vgprValuB_X2_I0+0+2+0+1], v[vgprValuA_X2_I0+0+2+0:vgprValuA_X2_I0+0+2+0+1], a[0:15]
/*  mfmaIndex:10  */
_buffer_load_b128 v[vgprG2LA+4:vgprG2LA+4+3], v[vgprGlobalReadOffsetA+0], s[sgprSrdA:sgprSrdA+3], s[sgprScalarGlobalReadOffsetA+0], offen offset:0 // G -> Reg 0_0_1_0
v_mfma_f32_32x32x8bf16_1k a[16+0:31+0], v[vgprValuB_X2_I0+0+2+0:vgprValuB_X2_I0+0+2+0+1], v[vgprValuA_X2_I0+4+2+0:vgprValuA_X2_I0+4+2+0+1], a[16:31]
/*  mfmaIndex:11  */
/* sched write - iter 3 writesPerItem=1 */
s_waitcnt vmcnt(0)                                 // lgkmcnt=-1 vmcnt=0wait for global read before writing to local
_ds_store_b128 v[vgprLocalWriteAddrA], v[vgprG2LA+8:vgprG2LA+8+3] offset:2304 // lwoA_0_0_2_0 = (0*LSCA)*(MT0I+PAD) + (2*LSPA) = 2304
v_mfma_f32_32x32x8bf16_1k a[32+0:47+0], v[vgprValuB_X2_I0+0+2+0:vgprValuB_X2_I0+0+2+0+1], v[vgprValuA_X2_I0+8+2+0:vgprValuA_X2_I0+8+2+0+1], a[32:47]


/* iter 4 */

/*  grEndMfmaIndex:2, lwStartMfmaIndex:8, lwEndMfmaIndex:20  */
/*  numMfmaForLR:2, barrierMfmaIndex:21, LocalWritePerMfma:0.540 */
/*  mfmaIndex:12  */
_buffer_load_b128 v[vgprG2LA+8:vgprG2LA+8+3], v[vgprGlobalReadOffsetA+0], s[sgprSrdA:sgprSrdA+3], s[sgprScalarGlobalReadOffsetA+1], offen offset:0 // G -> Reg 0_0_2_0
v_mfma_f32_32x32x8bf16_1k a[0+0:15+0], v[vgprValuB_X4_I0+0+0+0:vgprValuB_X4_I0+0+0+0+1], v[vgprValuA_X4_I0+0+0+0:vgprValuA_X4_I0+0+0+0+1], a[0:15]
/*  mfmaIndex:13  */
/* sched write - iter 4 writesPerItem=1 */
s_waitcnt vmcnt(0)                                 // lgkmcnt=-1 vmcnt=0wait for global read before writing to local
_ds_store_b128 v[vgprLocalWriteAddrB], v[vgprG2LB+0:vgprG2LB+0+3] offset:0 // lwoB_0_0_0_0 = (0*LSCB)*(MT1J+PAD) + (0*LSPB) = 0
v_mfma_f32_32x32x8bf16_1k a[16+0:31+0], v[vgprValuB_X4_I0+0+0+0:vgprValuB_X4_I0+0+0+0+1], v[vgprValuA_X4_I0+4+0+0:vgprValuA_X4_I0+4+0+0+1], a[16:31]
/*  mfmaIndex:14  */
_buffer_load_b128 v[vgprG2LB+0:vgprG2LB+0+3], v[vgprGlobalReadOffsetB+0], s[sgprSrdB:sgprSrdB+3], 0, offen offset:0 // G -> Reg 0_0_0_0
v_mfma_f32_32x32x8bf16_1k a[32+0:47+0], v[vgprValuB_X4_I0+0+0+0:vgprValuB_X4_I0+0+0+0+1], v[vgprValuA_X4_I0+8+0+0:vgprValuA_X4_I0+8+0+0+1], a[32:47]


/* iter 5 */

/*  grEndMfmaIndex:2, lwStartMfmaIndex:8, lwEndMfmaIndex:20  */
/*  numMfmaForLR:2, barrierMfmaIndex:21, LocalWritePerMfma:0.540 */
/*  mfmaIndex:15  */
/* sched write - iter 5 writesPerItem=1 */
s_waitcnt vmcnt(0)                                 // lgkmcnt=-1 vmcnt=0wait for global read before writing to local
_ds_store_b128 v[vgprLocalWriteAddrB], v[vgprG2LB+4:vgprG2LB+4+3] offset:4608 // lwoB_0_0_1_0 = (0*LSCB)*(MT1J+PAD) + (1*LSPB) = 4608
v_mfma_f32_32x32x8bf16_1k a[0+0:15+0], v[vgprValuB_X4_I0+0+2+0:vgprValuB_X4_I0+0+2+0+1], v[vgprValuA_X4_I0+0+2+0:vgprValuA_X4_I0+0+2+0+1], a[0:15]
/*  mfmaIndex:16  */
_buffer_load_b128 v[vgprG2LB+4:vgprG2LB+4+3], v[vgprGlobalReadOffsetB+0], s[sgprSrdB:sgprSrdB+3], s[sgprScalarGlobalReadOffsetB+0], offen offset:0 // G -> Reg 0_0_1_0
v_mfma_f32_32x32x8bf16_1k a[16+0:31+0], v[vgprValuB_X4_I0+0+2+0:vgprValuB_X4_I0+0+2+0+1], v[vgprValuA_X4_I0+4+2+0:vgprValuA_X4_I0+4+2+0+1], a[16:31]
/*  mfmaIndex:17  */
/* sched write - iter 5 writesPerItem=1 */
s_waitcnt vmcnt(0)                                 // lgkmcnt=-1 vmcnt=0wait for global read before writing to local
_ds_store_b128 v[vgprLocalWriteAddrB], v[vgprG2LB+8:vgprG2LB+8+3] offset:9216 // lwoB_0_0_2_0 = (0*LSCB)*(MT1J+PAD) + (2*LSPB) = 9216
v_mfma_f32_32x32x8bf16_1k a[32+0:47+0], v[vgprValuB_X4_I0+0+2+0:vgprValuB_X4_I0+0+2+0+1], v[vgprValuA_X4_I0+8+2+0:vgprValuA_X4_I0+8+2+0+1], a[32:47]


/* iter 6 (reset local read pointers iteration)  (swap and reset local write pointers iteration)  (swap local read pointers iteration)  */

/*  grEndMfmaIndex:2, lwStartMfmaIndex:8, lwEndMfmaIndex:20  */
/*  numMfmaForLR:2, barrierMfmaIndex:21, LocalWritePerMfma:0.540 */
/*  mfmaIndex:18  */
_buffer_load_b128 v[vgprG2LB+8:vgprG2LB+8+3], v[vgprGlobalReadOffsetB+0], s[sgprSrdB:sgprSrdB+3], s[sgprScalarGlobalReadOffsetB+1], offen offset:0 // G -> Reg 0_0_2_0
v_mfma_f32_32x32x8bf16_1k a[0+0:15+0], v[vgprValuB_X6_I0+0+0+0:vgprValuB_X6_I0+0+0+0+1], v[vgprValuA_X6_I0+0+0+0:vgprValuA_X6_I0+0+0+0+1], a[0:15]
/*  mfmaIndex:19  */
/* sched write - iter 6 writesPerItem=1 */
s_waitcnt vmcnt(0)                                 // lgkmcnt=-1 vmcnt=0wait for global read before writing to local
_ds_store_b128 v[vgprLocalWriteAddrB], v[vgprG2LB+12:vgprG2LB+12+3] offset:13824 // lwoB_0_0_3_0 = (0*LSCB)*(MT1J+PAD) + (3*LSPB) = 13824
v_mfma_f32_32x32x8bf16_1k a[16+0:31+0], v[vgprValuB_X6_I0+0+0+0:vgprValuB_X6_I0+0+0+0+1], v[vgprValuA_X6_I0+4+0+0:vgprValuA_X6_I0+4+0+0+1], a[16:31]
/*  mfmaIndex:20  */
_buffer_load_b128 v[vgprG2LB+12:vgprG2LB+12+3], v[vgprGlobalReadOffsetB+0], s[sgprSrdB:sgprSrdB+3], s[sgprScalarGlobalReadOffsetB+2], offen offset:0 // G -> Reg 0_0_3_0

/* local write swap offsets a */

/* local write swap offsets b */

/* local read swap offsets a */

/* local read swap offsets b */

/* local read init pointers a */

/* localReadInitPointers */

/* local read init pointers b */

/* localReadInitPointers */
v_mfma_f32_32x32x8bf16_1k a[32+0:47+0], v[vgprValuB_X6_I0+0+0+0:vgprValuB_X6_I0+0+0+0+1], v[vgprValuA_X6_I0+8+0+0:vgprValuA_X6_I0+8+0+0+1], a[32:47]


/* iter 7 */

/*  grEndMfmaIndex:2, lwStartMfmaIndex:8, lwEndMfmaIndex:20  */
/*  numMfmaForLR:2, barrierMfmaIndex:21, LocalWritePerMfma:0.540 */
/*  mfmaIndex:21  */
s_waitcnt lgkmcnt(0)                               // lgkmcnt=0 vmcnt=-13wait for local write
// Skip force waitcnt0
s_barrier //
v_mfma_f32_32x32x8bf16_1k a[0+0:15+0], v[vgprValuB_X6_I0+0+2+0:vgprValuB_X6_I0+0+2+0+1], v[vgprValuA_X6_I0+0+2+0:vgprValuA_X6_I0+0+2+0+1], a[0:15]
/*  mfmaIndex:22  */
_ds_load_b128 v[vgprValuA_X0_I0+0:vgprValuA_X0_I0+0+3], v[vgprLocalReadAddrA] offset:0 // L -> Reg lro=0 swapByteOffset=0 ti=32 vIdx=0 rIdx=0 oIdx=0 buffer=0 iui=0
_ds_load_b128 v[vgprValuB_X0_I0+0:vgprValuB_X0_I0+0+3], v[vgprLocalReadAddrB] offset:0 // L -> Reg lro=0 swapByteOffset=0 ti=128 vIdx=0 rIdx=0 oIdx=0 buffer=0 iui=0
_ds_load_b128 v[vgprValuA_X0_I0+4:vgprValuA_X0_I0+4+3], v[vgprLocalReadAddrA] offset:4608 // L -> Reg lro=0 swapByteOffset=0 ti=32 vIdx=1 rIdx=0 oIdx=0 buffer=0 iui=0
v_mfma_f32_32x32x8bf16_1k a[16+0:31+0], v[vgprValuB_X6_I0+0+2+0:vgprValuB_X6_I0+0+2+0+1], v[vgprValuA_X6_I0+4+2+0:vgprValuA_X6_I0+4+2+0+1], a[16:31]
/*  mfmaIndex:23  */
_ds_load_b128 v[vgprValuA_X0_I0+8:vgprValuA_X0_I0+8+3], v[vgprLocalReadAddrA] offset:9216 // L -> Reg lro=0 swapByteOffset=0 ti=32 vIdx=2 rIdx=0 oIdx=0 buffer=0 iui=0
v_mfma_f32_32x32x8bf16_1k a[32+0:47+0], v[vgprValuB_X6_I0+0+2+0:vgprValuB_X6_I0+0+2+0+1], v[vgprValuA_X6_I0+8+2+0:vgprValuA_X6_I0+8+2+0+1], a[32:47]


/******************************************/
/* Unrolled Loop - End 1/2                */
/******************************************/


/* closeLoop loopL finalLoop=0 tailLoop=0 */
s_sub_u32 s[sgprLoopCounterL], s[sgprLoopCounterL], 1 // dec counterL
s_cmp_eq_i32 s[sgprLoopCounterL], 0x2              // counterL==2
s_cbranch_scc1 LoopEndL_oddexit_3                  // exit LoopL


/******************************************/
/* Unrolled Loop 2/2 - Begin              */
/******************************************/

label_0016: // LoopCopy2 


/* Begin Each Unroll: Check VGPR.checkin for INT8 LW */


	;; [unrolled: 1-line block ×3, first 2 shown]
/* iter 0 */

/*  grEndMfmaIndex:2, lwStartMfmaIndex:8, lwEndMfmaIndex:20  */
/*  numMfmaForLR:2, barrierMfmaIndex:21, LocalWritePerMfma:0.540 */
/*  mfmaIndex:0  */
s_waitcnt lgkmcnt(0)                               // lgkmcnt=0 vmcnt=-1wait for prior local read local write old=0, new=0 newLW=0 newLR=0
v_mfma_f32_32x32x8bf16_1k a[0+0:15+0], v[vgprValuB_X0_I0+0+0+0:vgprValuB_X0_I0+0+0+0+1], v[vgprValuA_X0_I0+0+0+0:vgprValuA_X0_I0+0+0+0+1], a[0:15]
/*  mfmaIndex:1  */
_ds_load_b128 v[vgprValuA_X2_I0+0:vgprValuA_X2_I0+0+3], v[vgprLocalReadAddrA] offset:32 // L -> Reg lro=16 swapByteOffset=0 ti=32 vIdx=0 rIdx=0 oIdx=0 buffer=2 iui=0
_ds_load_b128 v[vgprValuB_X2_I0+0:vgprValuB_X2_I0+0+3], v[vgprLocalReadAddrB] offset:32 // L -> Reg lro=16 swapByteOffset=0 ti=128 vIdx=0 rIdx=0 oIdx=0 buffer=2 iui=0
_ds_load_b128 v[vgprValuA_X2_I0+4:vgprValuA_X2_I0+4+3], v[vgprLocalReadAddrA] offset:4640 // L -> Reg lro=16 swapByteOffset=0 ti=32 vIdx=1 rIdx=0 oIdx=0 buffer=2 iui=0

/* global read inc A loopL */
s_add_u32 s[sgprSrdA+0], s[sgprSrdA+0], s[sgprGlobalReadIncsA+0] // gra SRD += inc(lower)
s_addc_u32  s[sgprSrdA+1], s[sgprSrdA+1], 0        // gra SRD += inc(upper)
s_sub_u32 s[sgprShadowLimitA+0], s[sgprShadowLimitA+0], s[sgprGlobalReadIncsA+0] // limit -= inc)
s_subb_u32 s[sgprShadowLimitA+1], s[sgprShadowLimitA+1], 0 // limit -= inc)
s_cmp_eq_u32 s[sgprShadowLimitA+1], 0              // are we within 2^32?
s_cmov_b32 s[sgprSrdA+2], s[sgprShadowLimitA+0]    // Move shadow to real if we are within 2^32

/* global read inc B loopL */
s_add_u32 s[sgprSrdB+0], s[sgprSrdB+0], s[sgprGlobalReadIncsB+0] // gra SRD += inc(lower)
v_mfma_f32_32x32x8bf16_1k a[16+0:31+0], v[vgprValuB_X0_I0+0+0+0:vgprValuB_X0_I0+0+0+0+1], v[vgprValuA_X0_I0+4+0+0:vgprValuA_X0_I0+4+0+0+1], a[16:31]
/*  mfmaIndex:2  */
_ds_load_b128 v[vgprValuA_X2_I0+8:vgprValuA_X2_I0+8+3], v[vgprLocalReadAddrA] offset:9248 // L -> Reg lro=16 swapByteOffset=0 ti=32 vIdx=2 rIdx=0 oIdx=0 buffer=2 iui=0
/* localReadsVacancy: latencyLeft 9 */
_ds_load_b128 v[vgprValuA_X4_I0+0:vgprValuA_X4_I0+0+3], v[vgprLocalReadAddrA] offset:64 // L -> Reg lro=32 swapByteOffset=0 ti=32 vIdx=0 rIdx=0 oIdx=0 buffer=4 iui=0
_ds_load_b128 v[vgprValuB_X4_I0+0:vgprValuB_X4_I0+0+3], v[vgprLocalReadAddrB] offset:64 // L -> Reg lro=32 swapByteOffset=0 ti=128 vIdx=0 rIdx=0 oIdx=0 buffer=4 iui=0
s_addc_u32  s[sgprSrdB+1], s[sgprSrdB+1], 0        // gra SRD += inc(upper)
s_sub_u32 s[sgprShadowLimitB+0], s[sgprShadowLimitB+0], s[sgprGlobalReadIncsB+0] // limit -= inc)
s_subb_u32 s[sgprShadowLimitB+1], s[sgprShadowLimitB+1], 0 // limit -= inc)
s_cmp_eq_u32 s[sgprShadowLimitB+1], 0              // are we within 2^32?
s_cmov_b32 s[sgprSrdB+2], s[sgprShadowLimitB+0]    // Move shadow to real if we are within 2^32
v_mfma_f32_32x32x8bf16_1k a[32+0:47+0], v[vgprValuB_X0_I0+0+0+0:vgprValuB_X0_I0+0+0+0+1], v[vgprValuA_X0_I0+8+0+0:vgprValuA_X0_I0+8+0+0+1], a[32:47]
/* numPrefetchIter=0 */
/* dataAtIterA=-1 numReadsIterA=1 skipReadsIterA=1 readsPerIterA=3 */
/* dataAtIterB=-1 numReadsIterB=1 skipReadsIterB=1 readsPerIterB=1 */


/* iter 1 */

/*  grEndMfmaIndex:2, lwStartMfmaIndex:8, lwEndMfmaIndex:20  */
/*  numMfmaForLR:2, barrierMfmaIndex:21, LocalWritePerMfma:0.540 */
/*  mfmaIndex:3  */
_ds_load_b128 v[vgprValuA_X4_I0+4:vgprValuA_X4_I0+4+3], v[vgprLocalReadAddrA] offset:4672 // L -> Reg lro=32 swapByteOffset=0 ti=32 vIdx=1 rIdx=0 oIdx=0 buffer=4 iui=0
_ds_load_b128 v[vgprValuA_X4_I0+8:vgprValuA_X4_I0+8+3], v[vgprLocalReadAddrA] offset:9280 // L -> Reg lro=32 swapByteOffset=0 ti=32 vIdx=2 rIdx=0 oIdx=0 buffer=4 iui=0
/* localReadsVacancy: latencyLeft 5 */
_ds_load_b128 v[vgprValuA_X6_I0+0:vgprValuA_X6_I0+0+3], v[vgprLocalReadAddrA] offset:96 // L -> Reg lro=48 swapByteOffset=0 ti=32 vIdx=0 rIdx=0 oIdx=0 buffer=6 iui=0
s_waitcnt lgkmcnt(9)                               // lgkmcnt=0 vmcnt=-1wait for prior local read local write old=2, new=8 newLW=0 newLR=6
v_mfma_f32_32x32x8bf16_1k a[0+0:15+0], v[vgprValuB_X0_I0+0+2+0:vgprValuB_X0_I0+0+2+0+1], v[vgprValuA_X0_I0+0+2+0:vgprValuA_X0_I0+0+2+0+1], a[0:15]
/*  mfmaIndex:4  */
/* localReadsVacancy: latencyLeft 13 */
_ds_load_b128 v[vgprValuB_X6_I0+0:vgprValuB_X6_I0+0+3], v[vgprLocalReadAddrB] offset:96 // L -> Reg lro=48 swapByteOffset=0 ti=128 vIdx=0 rIdx=0 oIdx=0 buffer=6 iui=0
_ds_load_b128 v[vgprValuA_X6_I0+4:vgprValuA_X6_I0+4+3], v[vgprLocalReadAddrA] offset:4704 // L -> Reg lro=48 swapByteOffset=0 ti=32 vIdx=1 rIdx=0 oIdx=0 buffer=6 iui=0
_ds_load_b128 v[vgprValuA_X6_I0+8:vgprValuA_X6_I0+8+3], v[vgprLocalReadAddrA] offset:9312 // L -> Reg lro=48 swapByteOffset=0 ti=32 vIdx=2 rIdx=0 oIdx=0 buffer=6 iui=0
v_mfma_f32_32x32x8bf16_1k a[16+0:31+0], v[vgprValuB_X0_I0+0+2+0:vgprValuB_X0_I0+0+2+0+1], v[vgprValuA_X0_I0+4+2+0:vgprValuA_X0_I0+4+2+0+1], a[16:31]
/*  mfmaIndex:5  */
/* localReadsVacancy: latencyLeft 13 */
v_mfma_f32_32x32x8bf16_1k a[32+0:47+0], v[vgprValuB_X0_I0+0+2+0:vgprValuB_X0_I0+0+2+0+1], v[vgprValuA_X0_I0+8+2+0:vgprValuA_X0_I0+8+2+0+1], a[32:47]
/* numPrefetchIter=0 */
/* dataAtIterA=-1 numReadsIterA=2 skipReadsIterA=2 readsPerIterA=3 */
/* dataAtIterB=-1 numReadsIterB=2 skipReadsIterB=2 readsPerIterB=1 */


/* iter 2 */

/*  grEndMfmaIndex:2, lwStartMfmaIndex:8, lwEndMfmaIndex:20  */
/*  numMfmaForLR:2, barrierMfmaIndex:21, LocalWritePerMfma:0.540 */
/*  mfmaIndex:6  */
/* localReadsVacancy: latencyLeft 13 */
s_waitcnt lgkmcnt(8)                               // lgkmcnt=0 vmcnt=-1wait for prior local read local write old=4, new=8 newLW=0 newLR=4
v_mfma_f32_32x32x8bf16_1k a[0+0:15+0], v[vgprValuB_X2_I0+0+0+0:vgprValuB_X2_I0+0+0+0+1], v[vgprValuA_X2_I0+0+0+0:vgprValuA_X2_I0+0+0+0+1], a[0:15]
/*  mfmaIndex:7  */
/* localReadsVacancy: latencyLeft 13 */
/* 1 LDS buffer: read-sync-write */
s_waitcnt lgkmcnt(0)                               // 
s_barrier                                          // 
v_mfma_f32_32x32x8bf16_1k a[16+0:31+0], v[vgprValuB_X2_I0+0+0+0:vgprValuB_X2_I0+0+0+0+1], v[vgprValuA_X2_I0+4+0+0:vgprValuA_X2_I0+4+0+0+1], a[16:31]
/*  mfmaIndex:8  */
/* localReadsVacancy: latencyLeft 3 */
/* sched write - iter 2 writesPerItem=1 */
s_waitcnt vmcnt(0)                                 // lgkmcnt=-1 vmcnt=0wait for global read before writing to local
_ds_store_b128 v[vgprLocalWriteAddrA], v[vgprG2LA+0:vgprG2LA+0+3] offset:0 // lwoA_0_0_0_0 = (0*LSCA)*(MT0I+PAD) + (0*LSPA) = 0
v_mfma_f32_32x32x8bf16_1k a[32+0:47+0], v[vgprValuB_X2_I0+0+0+0:vgprValuB_X2_I0+0+0+0+1], v[vgprValuA_X2_I0+8+0+0:vgprValuA_X2_I0+8+0+0+1], a[32:47]
/* numPrefetchIter=0 */
/* dataAtIterA=0 numReadsIterA=3 skipReadsIterA=2 readsPerIterA=3 */
/* dataAtIterB=0 numReadsIterB=3 skipReadsIterB=2 readsPerIterB=1 */


/* iter 3 */

/*  grEndMfmaIndex:2, lwStartMfmaIndex:8, lwEndMfmaIndex:20  */
/*  numMfmaForLR:2, barrierMfmaIndex:21, LocalWritePerMfma:0.540 */
/*  mfmaIndex:9  */
_buffer_load_b128 v[vgprG2LA+0:vgprG2LA+0+3], v[vgprGlobalReadOffsetA+0], s[sgprSrdA:sgprSrdA+3], 0, offen offset:0 // G -> Reg 0_0_0_0
/* sched write - iter 3 writesPerItem=1 */
s_waitcnt vmcnt(0)                                 // lgkmcnt=-1 vmcnt=0wait for global read before writing to local
_ds_store_b128 v[vgprLocalWriteAddrA], v[vgprG2LA+4:vgprG2LA+4+3] offset:1152 // lwoA_0_0_1_0 = (0*LSCA)*(MT0I+PAD) + (1*LSPA) = 1152
v_mfma_f32_32x32x8bf16_1k a[0+0:15+0], v[vgprValuB_X2_I0+0+2+0:vgprValuB_X2_I0+0+2+0+1], v[vgprValuA_X2_I0+0+2+0:vgprValuA_X2_I0+0+2+0+1], a[0:15]
/*  mfmaIndex:10  */
_buffer_load_b128 v[vgprG2LA+4:vgprG2LA+4+3], v[vgprGlobalReadOffsetA+0], s[sgprSrdA:sgprSrdA+3], s[sgprScalarGlobalReadOffsetA+0], offen offset:0 // G -> Reg 0_0_1_0
v_mfma_f32_32x32x8bf16_1k a[16+0:31+0], v[vgprValuB_X2_I0+0+2+0:vgprValuB_X2_I0+0+2+0+1], v[vgprValuA_X2_I0+4+2+0:vgprValuA_X2_I0+4+2+0+1], a[16:31]
/*  mfmaIndex:11  */
/* sched write - iter 3 writesPerItem=1 */
s_waitcnt vmcnt(0)                                 // lgkmcnt=-1 vmcnt=0wait for global read before writing to local
_ds_store_b128 v[vgprLocalWriteAddrA], v[vgprG2LA+8:vgprG2LA+8+3] offset:2304 // lwoA_0_0_2_0 = (0*LSCA)*(MT0I+PAD) + (2*LSPA) = 2304
v_mfma_f32_32x32x8bf16_1k a[32+0:47+0], v[vgprValuB_X2_I0+0+2+0:vgprValuB_X2_I0+0+2+0+1], v[vgprValuA_X2_I0+8+2+0:vgprValuA_X2_I0+8+2+0+1], a[32:47]


/* iter 4 */

/*  grEndMfmaIndex:2, lwStartMfmaIndex:8, lwEndMfmaIndex:20  */
/*  numMfmaForLR:2, barrierMfmaIndex:21, LocalWritePerMfma:0.540 */
/*  mfmaIndex:12  */
_buffer_load_b128 v[vgprG2LA+8:vgprG2LA+8+3], v[vgprGlobalReadOffsetA+0], s[sgprSrdA:sgprSrdA+3], s[sgprScalarGlobalReadOffsetA+1], offen offset:0 // G -> Reg 0_0_2_0
v_mfma_f32_32x32x8bf16_1k a[0+0:15+0], v[vgprValuB_X4_I0+0+0+0:vgprValuB_X4_I0+0+0+0+1], v[vgprValuA_X4_I0+0+0+0:vgprValuA_X4_I0+0+0+0+1], a[0:15]
/*  mfmaIndex:13  */
/* sched write - iter 4 writesPerItem=1 */
s_waitcnt vmcnt(0)                                 // lgkmcnt=-1 vmcnt=0wait for global read before writing to local
_ds_store_b128 v[vgprLocalWriteAddrB], v[vgprG2LB+0:vgprG2LB+0+3] offset:0 // lwoB_0_0_0_0 = (0*LSCB)*(MT1J+PAD) + (0*LSPB) = 0
v_mfma_f32_32x32x8bf16_1k a[16+0:31+0], v[vgprValuB_X4_I0+0+0+0:vgprValuB_X4_I0+0+0+0+1], v[vgprValuA_X4_I0+4+0+0:vgprValuA_X4_I0+4+0+0+1], a[16:31]
/*  mfmaIndex:14  */
_buffer_load_b128 v[vgprG2LB+0:vgprG2LB+0+3], v[vgprGlobalReadOffsetB+0], s[sgprSrdB:sgprSrdB+3], 0, offen offset:0 // G -> Reg 0_0_0_0
v_mfma_f32_32x32x8bf16_1k a[32+0:47+0], v[vgprValuB_X4_I0+0+0+0:vgprValuB_X4_I0+0+0+0+1], v[vgprValuA_X4_I0+8+0+0:vgprValuA_X4_I0+8+0+0+1], a[32:47]


/* iter 5 */

/*  grEndMfmaIndex:2, lwStartMfmaIndex:8, lwEndMfmaIndex:20  */
/*  numMfmaForLR:2, barrierMfmaIndex:21, LocalWritePerMfma:0.540 */
/*  mfmaIndex:15  */
/* sched write - iter 5 writesPerItem=1 */
s_waitcnt vmcnt(0)                                 // lgkmcnt=-1 vmcnt=0wait for global read before writing to local
_ds_store_b128 v[vgprLocalWriteAddrB], v[vgprG2LB+4:vgprG2LB+4+3] offset:4608 // lwoB_0_0_1_0 = (0*LSCB)*(MT1J+PAD) + (1*LSPB) = 4608
v_mfma_f32_32x32x8bf16_1k a[0+0:15+0], v[vgprValuB_X4_I0+0+2+0:vgprValuB_X4_I0+0+2+0+1], v[vgprValuA_X4_I0+0+2+0:vgprValuA_X4_I0+0+2+0+1], a[0:15]
/*  mfmaIndex:16  */
_buffer_load_b128 v[vgprG2LB+4:vgprG2LB+4+3], v[vgprGlobalReadOffsetB+0], s[sgprSrdB:sgprSrdB+3], s[sgprScalarGlobalReadOffsetB+0], offen offset:0 // G -> Reg 0_0_1_0
v_mfma_f32_32x32x8bf16_1k a[16+0:31+0], v[vgprValuB_X4_I0+0+2+0:vgprValuB_X4_I0+0+2+0+1], v[vgprValuA_X4_I0+4+2+0:vgprValuA_X4_I0+4+2+0+1], a[16:31]
/*  mfmaIndex:17  */
/* sched write - iter 5 writesPerItem=1 */
s_waitcnt vmcnt(0)                                 // lgkmcnt=-1 vmcnt=0wait for global read before writing to local
_ds_store_b128 v[vgprLocalWriteAddrB], v[vgprG2LB+8:vgprG2LB+8+3] offset:9216 // lwoB_0_0_2_0 = (0*LSCB)*(MT1J+PAD) + (2*LSPB) = 9216
v_mfma_f32_32x32x8bf16_1k a[32+0:47+0], v[vgprValuB_X4_I0+0+2+0:vgprValuB_X4_I0+0+2+0+1], v[vgprValuA_X4_I0+8+2+0:vgprValuA_X4_I0+8+2+0+1], a[32:47]


/* iter 6 (reset local read pointers iteration)  (swap and reset local write pointers iteration)  (swap local read pointers iteration)  */

/*  grEndMfmaIndex:2, lwStartMfmaIndex:8, lwEndMfmaIndex:20  */
/*  numMfmaForLR:2, barrierMfmaIndex:21, LocalWritePerMfma:0.540 */
/*  mfmaIndex:18  */
_buffer_load_b128 v[vgprG2LB+8:vgprG2LB+8+3], v[vgprGlobalReadOffsetB+0], s[sgprSrdB:sgprSrdB+3], s[sgprScalarGlobalReadOffsetB+1], offen offset:0 // G -> Reg 0_0_2_0
v_mfma_f32_32x32x8bf16_1k a[0+0:15+0], v[vgprValuB_X6_I0+0+0+0:vgprValuB_X6_I0+0+0+0+1], v[vgprValuA_X6_I0+0+0+0:vgprValuA_X6_I0+0+0+0+1], a[0:15]
/*  mfmaIndex:19  */
/* sched write - iter 6 writesPerItem=1 */
s_waitcnt vmcnt(0)                                 // lgkmcnt=-1 vmcnt=0wait for global read before writing to local
_ds_store_b128 v[vgprLocalWriteAddrB], v[vgprG2LB+12:vgprG2LB+12+3] offset:13824 // lwoB_0_0_3_0 = (0*LSCB)*(MT1J+PAD) + (3*LSPB) = 13824
v_mfma_f32_32x32x8bf16_1k a[16+0:31+0], v[vgprValuB_X6_I0+0+0+0:vgprValuB_X6_I0+0+0+0+1], v[vgprValuA_X6_I0+4+0+0:vgprValuA_X6_I0+4+0+0+1], a[16:31]
/*  mfmaIndex:20  */
_buffer_load_b128 v[vgprG2LB+12:vgprG2LB+12+3], v[vgprGlobalReadOffsetB+0], s[sgprSrdB:sgprSrdB+3], s[sgprScalarGlobalReadOffsetB+2], offen offset:0 // G -> Reg 0_0_3_0

/* local write swap offsets a */

/* local write swap offsets b */

/* local read swap offsets a */

/* local read swap offsets b */

/* local read init pointers a */

/* localReadInitPointers */

/* local read init pointers b */

/* localReadInitPointers */
v_mfma_f32_32x32x8bf16_1k a[32+0:47+0], v[vgprValuB_X6_I0+0+0+0:vgprValuB_X6_I0+0+0+0+1], v[vgprValuA_X6_I0+8+0+0:vgprValuA_X6_I0+8+0+0+1], a[32:47]


/* iter 7 */

/*  grEndMfmaIndex:2, lwStartMfmaIndex:8, lwEndMfmaIndex:20  */
/*  numMfmaForLR:2, barrierMfmaIndex:21, LocalWritePerMfma:0.540 */
/*  mfmaIndex:21  */
s_waitcnt lgkmcnt(0)                               // lgkmcnt=0 vmcnt=-13wait for local write
// Skip force waitcnt0
s_barrier //
v_mfma_f32_32x32x8bf16_1k a[0+0:15+0], v[vgprValuB_X6_I0+0+2+0:vgprValuB_X6_I0+0+2+0+1], v[vgprValuA_X6_I0+0+2+0:vgprValuA_X6_I0+0+2+0+1], a[0:15]
/*  mfmaIndex:22  */
_ds_load_b128 v[vgprValuA_X0_I0+0:vgprValuA_X0_I0+0+3], v[vgprLocalReadAddrA] offset:0 // L -> Reg lro=0 swapByteOffset=0 ti=32 vIdx=0 rIdx=0 oIdx=0 buffer=0 iui=0
_ds_load_b128 v[vgprValuB_X0_I0+0:vgprValuB_X0_I0+0+3], v[vgprLocalReadAddrB] offset:0 // L -> Reg lro=0 swapByteOffset=0 ti=128 vIdx=0 rIdx=0 oIdx=0 buffer=0 iui=0
_ds_load_b128 v[vgprValuA_X0_I0+4:vgprValuA_X0_I0+4+3], v[vgprLocalReadAddrA] offset:4608 // L -> Reg lro=0 swapByteOffset=0 ti=32 vIdx=1 rIdx=0 oIdx=0 buffer=0 iui=0
v_mfma_f32_32x32x8bf16_1k a[16+0:31+0], v[vgprValuB_X6_I0+0+2+0:vgprValuB_X6_I0+0+2+0+1], v[vgprValuA_X6_I0+4+2+0:vgprValuA_X6_I0+4+2+0+1], a[16:31]
/*  mfmaIndex:23  */
_ds_load_b128 v[vgprValuA_X0_I0+8:vgprValuA_X0_I0+8+3], v[vgprLocalReadAddrA] offset:9216 // L -> Reg lro=0 swapByteOffset=0 ti=32 vIdx=2 rIdx=0 oIdx=0 buffer=0 iui=0
v_mfma_f32_32x32x8bf16_1k a[32+0:47+0], v[vgprValuB_X6_I0+0+2+0:vgprValuB_X6_I0+0+2+0+1], v[vgprValuA_X6_I0+8+2+0:vgprValuA_X6_I0+8+2+0+1], a[32:47]


/******************************************/
/* Unrolled Loop - End 2/2 (final)        */
/******************************************/


/* closeLoop loopL finalLoop=1 tailLoop=0 */
s_sub_u32 s[sgprLoopCounterL], s[sgprLoopCounterL], 1 // dec counterL
s_cmp_eq_i32 s[sgprLoopCounterL], 0x2              // counterL==2
s_cbranch_scc0 LoopBeginL_1                        // restart LoopL
LoopEndL_evenexit_4: // unroll loop eveniter exit
s_branch LoopEndL_2                                // exit unroll loopL (and skip second exit code)
LoopEndL_oddexit_3: // unroll loop odditer exit

/* Select high bank of LDS */
LoopEndL_2:


/* Before NLL: Check VGPR.checkin for INT8 LW */


/******************************************/
/* Ord. NoGlobalLoadLoop - Begin                                      */
/******************************************/


	;; [unrolled: 1-line block ×3, first 2 shown]
/* iter 0 */

/*  grEndMfmaIndex:2, lwStartMfmaIndex:8, lwEndMfmaIndex:20  */
/*  numMfmaForLR:2, barrierMfmaIndex:21, LocalWritePerMfma:0.540 */
/*  mfmaIndex:0  */
s_waitcnt lgkmcnt(0)                               // lgkmcnt=0 vmcnt=-1wait for prior local read local write old=0, new=0 newLW=0 newLR=0
v_mfma_f32_32x32x8bf16_1k a[0+0:15+0], v[vgprValuB_X0_I0+0+0+0:vgprValuB_X0_I0+0+0+0+1], v[vgprValuA_X0_I0+0+0+0:vgprValuA_X0_I0+0+0+0+1], a[0:15]
/*  mfmaIndex:1  */
_ds_load_b128 v[vgprValuA_X2_I0+0:vgprValuA_X2_I0+0+3], v[vgprLocalReadAddrA] offset:32 // L -> Reg lro=16 swapByteOffset=0 ti=32 vIdx=0 rIdx=0 oIdx=0 buffer=2 iui=0
_ds_load_b128 v[vgprValuB_X2_I0+0:vgprValuB_X2_I0+0+3], v[vgprLocalReadAddrB] offset:32 // L -> Reg lro=16 swapByteOffset=0 ti=128 vIdx=0 rIdx=0 oIdx=0 buffer=2 iui=0
_ds_load_b128 v[vgprValuA_X2_I0+4:vgprValuA_X2_I0+4+3], v[vgprLocalReadAddrA] offset:4640 // L -> Reg lro=16 swapByteOffset=0 ti=32 vIdx=1 rIdx=0 oIdx=0 buffer=2 iui=0

/* global read inc A loopL */
s_add_u32 s[sgprSrdA+0], s[sgprSrdA+0], s[sgprGlobalReadIncsA+0] // gra SRD += inc(lower)
s_addc_u32  s[sgprSrdA+1], s[sgprSrdA+1], 0        // gra SRD += inc(upper)
s_sub_u32 s[sgprShadowLimitA+0], s[sgprShadowLimitA+0], s[sgprGlobalReadIncsA+0] // limit -= inc)
s_subb_u32 s[sgprShadowLimitA+1], s[sgprShadowLimitA+1], 0 // limit -= inc)
s_cmp_eq_u32 s[sgprShadowLimitA+1], 0              // are we within 2^32?
s_cmov_b32 s[sgprSrdA+2], s[sgprShadowLimitA+0]    // Move shadow to real if we are within 2^32

/* global read inc B loopL */
s_add_u32 s[sgprSrdB+0], s[sgprSrdB+0], s[sgprGlobalReadIncsB+0] // gra SRD += inc(lower)
v_mfma_f32_32x32x8bf16_1k a[16+0:31+0], v[vgprValuB_X0_I0+0+0+0:vgprValuB_X0_I0+0+0+0+1], v[vgprValuA_X0_I0+4+0+0:vgprValuA_X0_I0+4+0+0+1], a[16:31]
/*  mfmaIndex:2  */
_ds_load_b128 v[vgprValuA_X2_I0+8:vgprValuA_X2_I0+8+3], v[vgprLocalReadAddrA] offset:9248 // L -> Reg lro=16 swapByteOffset=0 ti=32 vIdx=2 rIdx=0 oIdx=0 buffer=2 iui=0
/* localReadsVacancy: latencyLeft 9 */
_ds_load_b128 v[vgprValuA_X4_I0+0:vgprValuA_X4_I0+0+3], v[vgprLocalReadAddrA] offset:64 // L -> Reg lro=32 swapByteOffset=0 ti=32 vIdx=0 rIdx=0 oIdx=0 buffer=4 iui=0
_ds_load_b128 v[vgprValuB_X4_I0+0:vgprValuB_X4_I0+0+3], v[vgprLocalReadAddrB] offset:64 // L -> Reg lro=32 swapByteOffset=0 ti=128 vIdx=0 rIdx=0 oIdx=0 buffer=4 iui=0
s_addc_u32  s[sgprSrdB+1], s[sgprSrdB+1], 0        // gra SRD += inc(upper)
s_sub_u32 s[sgprShadowLimitB+0], s[sgprShadowLimitB+0], s[sgprGlobalReadIncsB+0] // limit -= inc)
s_subb_u32 s[sgprShadowLimitB+1], s[sgprShadowLimitB+1], 0 // limit -= inc)
s_cmp_eq_u32 s[sgprShadowLimitB+1], 0              // are we within 2^32?
s_cmov_b32 s[sgprSrdB+2], s[sgprShadowLimitB+0]    // Move shadow to real if we are within 2^32
v_mfma_f32_32x32x8bf16_1k a[32+0:47+0], v[vgprValuB_X0_I0+0+0+0:vgprValuB_X0_I0+0+0+0+1], v[vgprValuA_X0_I0+8+0+0:vgprValuA_X0_I0+8+0+0+1], a[32:47]
/* numPrefetchIter=0 */
/* dataAtIterA=-1 numReadsIterA=1 skipReadsIterA=1 readsPerIterA=3 */
/* dataAtIterB=-1 numReadsIterB=1 skipReadsIterB=1 readsPerIterB=1 */


/* iter 1 */

/*  grEndMfmaIndex:2, lwStartMfmaIndex:8, lwEndMfmaIndex:20  */
/*  numMfmaForLR:2, barrierMfmaIndex:21, LocalWritePerMfma:0.540 */
/*  mfmaIndex:3  */
_ds_load_b128 v[vgprValuA_X4_I0+4:vgprValuA_X4_I0+4+3], v[vgprLocalReadAddrA] offset:4672 // L -> Reg lro=32 swapByteOffset=0 ti=32 vIdx=1 rIdx=0 oIdx=0 buffer=4 iui=0
_ds_load_b128 v[vgprValuA_X4_I0+8:vgprValuA_X4_I0+8+3], v[vgprLocalReadAddrA] offset:9280 // L -> Reg lro=32 swapByteOffset=0 ti=32 vIdx=2 rIdx=0 oIdx=0 buffer=4 iui=0
/* localReadsVacancy: latencyLeft 5 */
_ds_load_b128 v[vgprValuA_X6_I0+0:vgprValuA_X6_I0+0+3], v[vgprLocalReadAddrA] offset:96 // L -> Reg lro=48 swapByteOffset=0 ti=32 vIdx=0 rIdx=0 oIdx=0 buffer=6 iui=0
s_waitcnt lgkmcnt(9)                               // lgkmcnt=0 vmcnt=-1wait for prior local read local write old=2, new=8 newLW=0 newLR=6
v_mfma_f32_32x32x8bf16_1k a[0+0:15+0], v[vgprValuB_X0_I0+0+2+0:vgprValuB_X0_I0+0+2+0+1], v[vgprValuA_X0_I0+0+2+0:vgprValuA_X0_I0+0+2+0+1], a[0:15]
/*  mfmaIndex:4  */
/* localReadsVacancy: latencyLeft 13 */
_ds_load_b128 v[vgprValuB_X6_I0+0:vgprValuB_X6_I0+0+3], v[vgprLocalReadAddrB] offset:96 // L -> Reg lro=48 swapByteOffset=0 ti=128 vIdx=0 rIdx=0 oIdx=0 buffer=6 iui=0
_ds_load_b128 v[vgprValuA_X6_I0+4:vgprValuA_X6_I0+4+3], v[vgprLocalReadAddrA] offset:4704 // L -> Reg lro=48 swapByteOffset=0 ti=32 vIdx=1 rIdx=0 oIdx=0 buffer=6 iui=0
_ds_load_b128 v[vgprValuA_X6_I0+8:vgprValuA_X6_I0+8+3], v[vgprLocalReadAddrA] offset:9312 // L -> Reg lro=48 swapByteOffset=0 ti=32 vIdx=2 rIdx=0 oIdx=0 buffer=6 iui=0
v_mfma_f32_32x32x8bf16_1k a[16+0:31+0], v[vgprValuB_X0_I0+0+2+0:vgprValuB_X0_I0+0+2+0+1], v[vgprValuA_X0_I0+4+2+0:vgprValuA_X0_I0+4+2+0+1], a[16:31]
/*  mfmaIndex:5  */
/* localReadsVacancy: latencyLeft 13 */
v_mfma_f32_32x32x8bf16_1k a[32+0:47+0], v[vgprValuB_X0_I0+0+2+0:vgprValuB_X0_I0+0+2+0+1], v[vgprValuA_X0_I0+8+2+0:vgprValuA_X0_I0+8+2+0+1], a[32:47]
/* numPrefetchIter=0 */
/* dataAtIterA=-1 numReadsIterA=2 skipReadsIterA=2 readsPerIterA=3 */
/* dataAtIterB=-1 numReadsIterB=2 skipReadsIterB=2 readsPerIterB=1 */


/* iter 2 */

/*  grEndMfmaIndex:2, lwStartMfmaIndex:8, lwEndMfmaIndex:20  */
/*  numMfmaForLR:2, barrierMfmaIndex:21, LocalWritePerMfma:0.540 */
/*  mfmaIndex:6  */
/* localReadsVacancy: latencyLeft 13 */
s_waitcnt lgkmcnt(8)                               // lgkmcnt=0 vmcnt=-1wait for prior local read local write old=4, new=8 newLW=0 newLR=4
v_mfma_f32_32x32x8bf16_1k a[0+0:15+0], v[vgprValuB_X2_I0+0+0+0:vgprValuB_X2_I0+0+0+0+1], v[vgprValuA_X2_I0+0+0+0:vgprValuA_X2_I0+0+0+0+1], a[0:15]
/*  mfmaIndex:7  */
/* localReadsVacancy: latencyLeft 13 */
/* 1 LDS buffer: read-sync-write */
s_waitcnt lgkmcnt(0)                               // 
s_barrier                                          // 
v_mfma_f32_32x32x8bf16_1k a[16+0:31+0], v[vgprValuB_X2_I0+0+0+0:vgprValuB_X2_I0+0+0+0+1], v[vgprValuA_X2_I0+4+0+0:vgprValuA_X2_I0+4+0+0+1], a[16:31]
/*  mfmaIndex:8  */
/* localReadsVacancy: latencyLeft 3 */
/* sched write - iter 2 writesPerItem=1 */
s_waitcnt vmcnt(0)                                 // lgkmcnt=-1 vmcnt=0wait for global read before writing to local
_ds_store_b128 v[vgprLocalWriteAddrA], v[vgprG2LA+0:vgprG2LA+0+3] offset:0 // lwoA_0_0_0_0 = (0*LSCA)*(MT0I+PAD) + (0*LSPA) = 0
v_mfma_f32_32x32x8bf16_1k a[32+0:47+0], v[vgprValuB_X2_I0+0+0+0:vgprValuB_X2_I0+0+0+0+1], v[vgprValuA_X2_I0+8+0+0:vgprValuA_X2_I0+8+0+0+1], a[32:47]
/* numPrefetchIter=0 */
/* dataAtIterA=0 numReadsIterA=3 skipReadsIterA=2 readsPerIterA=3 */
/* dataAtIterB=0 numReadsIterB=3 skipReadsIterB=2 readsPerIterB=1 */


/* iter 3 */

/*  grEndMfmaIndex:2, lwStartMfmaIndex:8, lwEndMfmaIndex:20  */
/*  numMfmaForLR:2, barrierMfmaIndex:21, LocalWritePerMfma:0.540 */
/*  mfmaIndex:9  */
/* sched write - iter 3 writesPerItem=1 */
s_waitcnt vmcnt(0)                                 // lgkmcnt=-1 vmcnt=0wait for global read before writing to local
_ds_store_b128 v[vgprLocalWriteAddrA], v[vgprG2LA+4:vgprG2LA+4+3] offset:1152 // lwoA_0_0_1_0 = (0*LSCA)*(MT0I+PAD) + (1*LSPA) = 1152
v_mfma_f32_32x32x8bf16_1k a[0+0:15+0], v[vgprValuB_X2_I0+0+2+0:vgprValuB_X2_I0+0+2+0+1], v[vgprValuA_X2_I0+0+2+0:vgprValuA_X2_I0+0+2+0+1], a[0:15]
/*  mfmaIndex:10  */
v_mfma_f32_32x32x8bf16_1k a[16+0:31+0], v[vgprValuB_X2_I0+0+2+0:vgprValuB_X2_I0+0+2+0+1], v[vgprValuA_X2_I0+4+2+0:vgprValuA_X2_I0+4+2+0+1], a[16:31]
/*  mfmaIndex:11  */
/* sched write - iter 3 writesPerItem=1 */
s_waitcnt vmcnt(0)                                 // lgkmcnt=-1 vmcnt=0wait for global read before writing to local
_ds_store_b128 v[vgprLocalWriteAddrA], v[vgprG2LA+8:vgprG2LA+8+3] offset:2304 // lwoA_0_0_2_0 = (0*LSCA)*(MT0I+PAD) + (2*LSPA) = 2304
v_mfma_f32_32x32x8bf16_1k a[32+0:47+0], v[vgprValuB_X2_I0+0+2+0:vgprValuB_X2_I0+0+2+0+1], v[vgprValuA_X2_I0+8+2+0:vgprValuA_X2_I0+8+2+0+1], a[32:47]


/* iter 4 */

/*  grEndMfmaIndex:2, lwStartMfmaIndex:8, lwEndMfmaIndex:20  */
/*  numMfmaForLR:2, barrierMfmaIndex:21, LocalWritePerMfma:0.540 */
/*  mfmaIndex:12  */
v_mfma_f32_32x32x8bf16_1k a[0+0:15+0], v[vgprValuB_X4_I0+0+0+0:vgprValuB_X4_I0+0+0+0+1], v[vgprValuA_X4_I0+0+0+0:vgprValuA_X4_I0+0+0+0+1], a[0:15]
/*  mfmaIndex:13  */
/* sched write - iter 4 writesPerItem=1 */
s_waitcnt vmcnt(0)                                 // lgkmcnt=-1 vmcnt=0wait for global read before writing to local
_ds_store_b128 v[vgprLocalWriteAddrB], v[vgprG2LB+0:vgprG2LB+0+3] offset:0 // lwoB_0_0_0_0 = (0*LSCB)*(MT1J+PAD) + (0*LSPB) = 0
v_mfma_f32_32x32x8bf16_1k a[16+0:31+0], v[vgprValuB_X4_I0+0+0+0:vgprValuB_X4_I0+0+0+0+1], v[vgprValuA_X4_I0+4+0+0:vgprValuA_X4_I0+4+0+0+1], a[16:31]
/*  mfmaIndex:14  */
v_mfma_f32_32x32x8bf16_1k a[32+0:47+0], v[vgprValuB_X4_I0+0+0+0:vgprValuB_X4_I0+0+0+0+1], v[vgprValuA_X4_I0+8+0+0:vgprValuA_X4_I0+8+0+0+1], a[32:47]


/* iter 5 */

/*  grEndMfmaIndex:2, lwStartMfmaIndex:8, lwEndMfmaIndex:20  */
/*  numMfmaForLR:2, barrierMfmaIndex:21, LocalWritePerMfma:0.540 */
/*  mfmaIndex:15  */
/* sched write - iter 5 writesPerItem=1 */
s_waitcnt vmcnt(0)                                 // lgkmcnt=-1 vmcnt=0wait for global read before writing to local
_ds_store_b128 v[vgprLocalWriteAddrB], v[vgprG2LB+4:vgprG2LB+4+3] offset:4608 // lwoB_0_0_1_0 = (0*LSCB)*(MT1J+PAD) + (1*LSPB) = 4608
v_mfma_f32_32x32x8bf16_1k a[0+0:15+0], v[vgprValuB_X4_I0+0+2+0:vgprValuB_X4_I0+0+2+0+1], v[vgprValuA_X4_I0+0+2+0:vgprValuA_X4_I0+0+2+0+1], a[0:15]
/*  mfmaIndex:16  */
v_mfma_f32_32x32x8bf16_1k a[16+0:31+0], v[vgprValuB_X4_I0+0+2+0:vgprValuB_X4_I0+0+2+0+1], v[vgprValuA_X4_I0+4+2+0:vgprValuA_X4_I0+4+2+0+1], a[16:31]
/*  mfmaIndex:17  */
/* sched write - iter 5 writesPerItem=1 */
s_waitcnt vmcnt(0)                                 // lgkmcnt=-1 vmcnt=0wait for global read before writing to local
_ds_store_b128 v[vgprLocalWriteAddrB], v[vgprG2LB+8:vgprG2LB+8+3] offset:9216 // lwoB_0_0_2_0 = (0*LSCB)*(MT1J+PAD) + (2*LSPB) = 9216
v_mfma_f32_32x32x8bf16_1k a[32+0:47+0], v[vgprValuB_X4_I0+0+2+0:vgprValuB_X4_I0+0+2+0+1], v[vgprValuA_X4_I0+8+2+0:vgprValuA_X4_I0+8+2+0+1], a[32:47]


/* iter 6 (reset local read pointers iteration)  (swap and reset local write pointers iteration)  (swap local read pointers iteration)  */

/*  grEndMfmaIndex:2, lwStartMfmaIndex:8, lwEndMfmaIndex:20  */
/*  numMfmaForLR:2, barrierMfmaIndex:21, LocalWritePerMfma:0.540 */
/*  mfmaIndex:18  */
v_mfma_f32_32x32x8bf16_1k a[0+0:15+0], v[vgprValuB_X6_I0+0+0+0:vgprValuB_X6_I0+0+0+0+1], v[vgprValuA_X6_I0+0+0+0:vgprValuA_X6_I0+0+0+0+1], a[0:15]
/*  mfmaIndex:19  */
/* sched write - iter 6 writesPerItem=1 */
s_waitcnt vmcnt(0)                                 // lgkmcnt=-1 vmcnt=0wait for global read before writing to local
_ds_store_b128 v[vgprLocalWriteAddrB], v[vgprG2LB+12:vgprG2LB+12+3] offset:13824 // lwoB_0_0_3_0 = (0*LSCB)*(MT1J+PAD) + (3*LSPB) = 13824
v_mfma_f32_32x32x8bf16_1k a[16+0:31+0], v[vgprValuB_X6_I0+0+0+0:vgprValuB_X6_I0+0+0+0+1], v[vgprValuA_X6_I0+4+0+0:vgprValuA_X6_I0+4+0+0+1], a[16:31]
/*  mfmaIndex:20  */

/* local write swap offsets a */

/* local write swap offsets b */

/* local read swap offsets a */

/* local read swap offsets b */

/* local read init pointers a */

/* localReadInitPointers */

/* local read init pointers b */

/* localReadInitPointers */
v_mfma_f32_32x32x8bf16_1k a[32+0:47+0], v[vgprValuB_X6_I0+0+0+0:vgprValuB_X6_I0+0+0+0+1], v[vgprValuA_X6_I0+8+0+0:vgprValuA_X6_I0+8+0+0+1], a[32:47]


/* iter 7 */

/*  grEndMfmaIndex:2, lwStartMfmaIndex:8, lwEndMfmaIndex:20  */
/*  numMfmaForLR:2, barrierMfmaIndex:21, LocalWritePerMfma:0.540 */
/*  mfmaIndex:21  */
s_waitcnt lgkmcnt(0)                               // lgkmcnt=0 vmcnt=-13wait for local write
// Skip force waitcnt0
s_barrier //
v_mfma_f32_32x32x8bf16_1k a[0+0:15+0], v[vgprValuB_X6_I0+0+2+0:vgprValuB_X6_I0+0+2+0+1], v[vgprValuA_X6_I0+0+2+0:vgprValuA_X6_I0+0+2+0+1], a[0:15]
/*  mfmaIndex:22  */
_ds_load_b128 v[vgprValuA_X0_I0+0:vgprValuA_X0_I0+0+3], v[vgprLocalReadAddrA] offset:0 // L -> Reg lro=0 swapByteOffset=0 ti=32 vIdx=0 rIdx=0 oIdx=0 buffer=0 iui=0
_ds_load_b128 v[vgprValuB_X0_I0+0:vgprValuB_X0_I0+0+3], v[vgprLocalReadAddrB] offset:0 // L -> Reg lro=0 swapByteOffset=0 ti=128 vIdx=0 rIdx=0 oIdx=0 buffer=0 iui=0
_ds_load_b128 v[vgprValuA_X0_I0+4:vgprValuA_X0_I0+4+3], v[vgprLocalReadAddrA] offset:4608 // L -> Reg lro=0 swapByteOffset=0 ti=32 vIdx=1 rIdx=0 oIdx=0 buffer=0 iui=0
v_mfma_f32_32x32x8bf16_1k a[16+0:31+0], v[vgprValuB_X6_I0+0+2+0:vgprValuB_X6_I0+0+2+0+1], v[vgprValuA_X6_I0+4+2+0:vgprValuA_X6_I0+4+2+0+1], a[16:31]
/*  mfmaIndex:23  */
_ds_load_b128 v[vgprValuA_X0_I0+8:vgprValuA_X0_I0+8+3], v[vgprLocalReadAddrA] offset:9216 // L -> Reg lro=0 swapByteOffset=0 ti=32 vIdx=2 rIdx=0 oIdx=0 buffer=0 iui=0
v_mfma_f32_32x32x8bf16_1k a[32+0:47+0], v[vgprValuB_X6_I0+0+2+0:vgprValuB_X6_I0+0+2+0+1], v[vgprValuA_X6_I0+8+2+0:vgprValuA_X6_I0+8+2+0+1], a[32:47]

label_0014:


/******************************************/
/* Opt. NoLoadLoop Without PAP - Begin                                      */
/******************************************/

s_cmpk_eq_u32 s[sgprBeta], 0x0                     // Beta == 0
s_cbranch_scc0 OptNLL_End_17                       // Branch if Beta is not zero

s_cmp_eq_u32 s[sgprAlpha], 1.0                     // Alpha == 1.0 ?
s_cbranch_scc0 OptNLL_End_17                       // branch if alpha != 1

s_mov_b32 s59, 0x0                                 // STATIC_DIV: divisior=96
s_mul_i32 s58, 0x555, s[sgprSizeI]                 // tmp1 = dividend * magic hi
s_lshl_b64 s[58:59], s[58:59], 0x10                // left shift 16 bits
s_mul_i32 s57, s[sgprSizeI], 0x5556                // tmp0 = dividend * magic lo
s_add_u32 s58, s57, s58                            // add lo
s_addc_u32 s59, s59, 0x0                           // add hi
s_lshr_b64 s[58:59], s[58:59], 0x21                // tmp1 = (dividend * magic) << shift
s_mov_b32 s57, s58                                 // quotient
s_mul_i32 s58, s57, 0x60                           // quotient*divisor
s_sub_u32 s56, s[sgprSizeI], s58                   // rReg = dividend - quotient*divisor
s_add_u32 s57, -0x1, s[sgprNumWorkGroups0]         // 
s_cmp_ge_u32 s[sgprWorkGroup0], s57                // wg0 >= nwg0-1 ?
s_cselect_b32 s56, s56, 0                          // set rMT0
s_cmpk_gt_u32 s56, 0x0                             // rMT0 > 0
s_cbranch_scc1 OptNLL_End_17                       // jump if edges required
s_and_b32 s56, 127, s[sgprSizeJ]                   // s56 = s[sgprSizeJ] % 128
s_add_u32 s57, -0x1, s[sgprNumWorkGroups1]         // 
s_cmp_ge_u32 s[sgprWorkGroup1], s57                // wg1 >= nwg1-1
s_cselect_b32 s56, s56, 0                          // set rMT1
s_cmpk_gt_u32 s56, 0x0                             // rMT1 > 0
s_cbranch_scc1 OptNLL_End_17                       // jump if edges required

s_and_b32 s57, 63, s[sgprSizesSum+0]               // s57 = s[sgprSizesSum+0] % 64
s_cmp_eq_u32 s57, 0x0                              // numIterL == 0
s_cbranch_scc0 OptNLL_End_17                       // skip if tail loop required



/* iter 0 (last unrolled loop) */

/*  grEndMfmaIndex:0, lwStartMfmaIndex:20, lwEndMfmaIndex:20  */
/*  numMfmaForLR:2, barrierMfmaIndex:21, LocalWritePerMfma:0.540 */
/*  mfmaIndex:0  */
s_waitcnt lgkmcnt(0)                               // lgkmcnt=0 vmcnt=-1wait for prior local read local write old=0, new=0 newLW=0 newLR=0
v_mfma_f32_32x32x8bf16_1k a[0+0:15+0], v[vgprValuB_X0_I0+0+0+0:vgprValuB_X0_I0+0+0+0+1], v[vgprValuA_X0_I0+0+0+0:vgprValuA_X0_I0+0+0+0+1], a[0:15]
/*  mfmaIndex:1  */
_ds_load_b128 v[vgprValuA_X2_I0+0:vgprValuA_X2_I0+0+3], v[vgprLocalReadAddrA] offset:32 // L -> Reg lro=16 swapByteOffset=0 ti=32 vIdx=0 rIdx=0 oIdx=0 buffer=2 iui=0
_ds_load_b128 v[vgprValuB_X2_I0+0:vgprValuB_X2_I0+0+3], v[vgprLocalReadAddrB] offset:32 // L -> Reg lro=16 swapByteOffset=0 ti=128 vIdx=0 rIdx=0 oIdx=0 buffer=2 iui=0
_ds_load_b128 v[vgprValuA_X2_I0+4:vgprValuA_X2_I0+4+3], v[vgprLocalReadAddrA] offset:4640 // L -> Reg lro=16 swapByteOffset=0 ti=32 vIdx=1 rIdx=0 oIdx=0 buffer=2 iui=0
v_mfma_f32_32x32x8bf16_1k a[16+0:31+0], v[vgprValuB_X0_I0+0+0+0:vgprValuB_X0_I0+0+0+0+1], v[vgprValuA_X0_I0+4+0+0:vgprValuA_X0_I0+4+0+0+1], a[16:31]
/*  mfmaIndex:2  */
_ds_load_b128 v[vgprValuA_X2_I0+8:vgprValuA_X2_I0+8+3], v[vgprLocalReadAddrA] offset:9248 // L -> Reg lro=16 swapByteOffset=0 ti=32 vIdx=2 rIdx=0 oIdx=0 buffer=2 iui=0
/* localReadsVacancy: latencyLeft 9 */
_ds_load_b128 v[vgprValuA_X4_I0+0:vgprValuA_X4_I0+0+3], v[vgprLocalReadAddrA] offset:64 // L -> Reg lro=32 swapByteOffset=0 ti=32 vIdx=0 rIdx=0 oIdx=0 buffer=4 iui=0
_ds_load_b128 v[vgprValuB_X4_I0+0:vgprValuB_X4_I0+0+3], v[vgprLocalReadAddrB] offset:64 // L -> Reg lro=32 swapByteOffset=0 ti=128 vIdx=0 rIdx=0 oIdx=0 buffer=4 iui=0
v_mfma_f32_32x32x8bf16_1k a[32+0:47+0], v[vgprValuB_X0_I0+0+0+0:vgprValuB_X0_I0+0+0+0+1], v[vgprValuA_X0_I0+8+0+0:vgprValuA_X0_I0+8+0+0+1], a[32:47]
/* numPrefetchIter=0 */
/* dataAtIterA=-1 numReadsIterA=1 skipReadsIterA=1 readsPerIterA=3 */
/* dataAtIterB=-1 numReadsIterB=1 skipReadsIterB=1 readsPerIterB=1 */


/* iter 1 (last unrolled loop) */

/*  grEndMfmaIndex:0, lwStartMfmaIndex:20, lwEndMfmaIndex:20  */
/*  numMfmaForLR:2, barrierMfmaIndex:21, LocalWritePerMfma:0.540 */
/*  mfmaIndex:3  */
_ds_load_b128 v[vgprValuA_X4_I0+4:vgprValuA_X4_I0+4+3], v[vgprLocalReadAddrA] offset:4672 // L -> Reg lro=32 swapByteOffset=0 ti=32 vIdx=1 rIdx=0 oIdx=0 buffer=4 iui=0
_ds_load_b128 v[vgprValuA_X4_I0+8:vgprValuA_X4_I0+8+3], v[vgprLocalReadAddrA] offset:9280 // L -> Reg lro=32 swapByteOffset=0 ti=32 vIdx=2 rIdx=0 oIdx=0 buffer=4 iui=0
/* localReadsVacancy: latencyLeft 5 */
_ds_load_b128 v[vgprValuA_X6_I0+0:vgprValuA_X6_I0+0+3], v[vgprLocalReadAddrA] offset:96 // L -> Reg lro=48 swapByteOffset=0 ti=32 vIdx=0 rIdx=0 oIdx=0 buffer=6 iui=0
s_waitcnt lgkmcnt(9)                               // lgkmcnt=0 vmcnt=-1wait for prior local read local write old=2, new=8 newLW=0 newLR=6
v_mfma_f32_32x32x8bf16_1k a[0+0:15+0], v[vgprValuB_X0_I0+0+2+0:vgprValuB_X0_I0+0+2+0+1], v[vgprValuA_X0_I0+0+2+0:vgprValuA_X0_I0+0+2+0+1], a[0:15]
/*  mfmaIndex:4  */
/* localReadsVacancy: latencyLeft 13 */
_ds_load_b128 v[vgprValuB_X6_I0+0:vgprValuB_X6_I0+0+3], v[vgprLocalReadAddrB] offset:96 // L -> Reg lro=48 swapByteOffset=0 ti=128 vIdx=0 rIdx=0 oIdx=0 buffer=6 iui=0
_ds_load_b128 v[vgprValuA_X6_I0+4:vgprValuA_X6_I0+4+3], v[vgprLocalReadAddrA] offset:4704 // L -> Reg lro=48 swapByteOffset=0 ti=32 vIdx=1 rIdx=0 oIdx=0 buffer=6 iui=0
_ds_load_b128 v[vgprValuA_X6_I0+8:vgprValuA_X6_I0+8+3], v[vgprLocalReadAddrA] offset:9312 // L -> Reg lro=48 swapByteOffset=0 ti=32 vIdx=2 rIdx=0 oIdx=0 buffer=6 iui=0
v_mfma_f32_32x32x8bf16_1k a[16+0:31+0], v[vgprValuB_X0_I0+0+2+0:vgprValuB_X0_I0+0+2+0+1], v[vgprValuA_X0_I0+4+2+0:vgprValuA_X0_I0+4+2+0+1], a[16:31]
/*  mfmaIndex:5  */
/* localReadsVacancy: latencyLeft 13 */
v_mfma_f32_32x32x8bf16_1k a[32+0:47+0], v[vgprValuB_X0_I0+0+2+0:vgprValuB_X0_I0+0+2+0+1], v[vgprValuA_X0_I0+8+2+0:vgprValuA_X0_I0+8+2+0+1], a[32:47]
/* numPrefetchIter=0 */
/* dataAtIterA=-1 numReadsIterA=2 skipReadsIterA=2 readsPerIterA=3 */
/* dataAtIterB=-1 numReadsIterB=2 skipReadsIterB=2 readsPerIterB=1 */


/* iter 2 (last unrolled loop) */

/*  grEndMfmaIndex:0, lwStartMfmaIndex:20, lwEndMfmaIndex:20  */
/*  numMfmaForLR:2, barrierMfmaIndex:21, LocalWritePerMfma:0.540 */
/*  mfmaIndex:6  */
/* localReadsVacancy: latencyLeft 13 */
s_waitcnt lgkmcnt(8)                               // lgkmcnt=0 vmcnt=-1wait for prior local read local write old=4, new=8 newLW=0 newLR=4
v_mfma_f32_32x32x8bf16_1k a[0+0:15+0], v[vgprValuB_X2_I0+0+0+0:vgprValuB_X2_I0+0+0+0+1], v[vgprValuA_X2_I0+0+0+0:vgprValuA_X2_I0+0+0+0+1], a[0:15]
/*  mfmaIndex:7  */
/* localReadsVacancy: latencyLeft 13 */
v_mfma_f32_32x32x8bf16_1k a[16+0:31+0], v[vgprValuB_X2_I0+0+0+0:vgprValuB_X2_I0+0+0+0+1], v[vgprValuA_X2_I0+4+0+0:vgprValuA_X2_I0+4+0+0+1], a[16:31]
/*  mfmaIndex:8  */
/* localReadsVacancy: latencyLeft 13 */
v_mfma_f32_32x32x8bf16_1k a[32+0:47+0], v[vgprValuB_X2_I0+0+0+0:vgprValuB_X2_I0+0+0+0+1], v[vgprValuA_X2_I0+8+0+0:vgprValuA_X2_I0+8+0+0+1], a[32:47]
/* numPrefetchIter=0 */
/* dataAtIterA=0 numReadsIterA=3 skipReadsIterA=2 readsPerIterA=3 */
/* dataAtIterB=0 numReadsIterB=3 skipReadsIterB=2 readsPerIterB=1 */


/* iter 3 (last unrolled loop) */

/*  grEndMfmaIndex:0, lwStartMfmaIndex:20, lwEndMfmaIndex:20  */
/*  numMfmaForLR:2, barrierMfmaIndex:21, LocalWritePerMfma:0.540 */
/*  mfmaIndex:9  */
/* localReadsVacancy: latencyLeft 13 */
s_waitcnt lgkmcnt(8)                               // lgkmcnt=0 vmcnt=-1wait for prior local read local write old=0, new=8 newLW=0 newLR=8
v_mfma_f32_32x32x8bf16_1k a[0+0:15+0], v[vgprValuB_X2_I0+0+2+0:vgprValuB_X2_I0+0+2+0+1], v[vgprValuA_X2_I0+0+2+0:vgprValuA_X2_I0+0+2+0+1], a[0:15]
/*  mfmaIndex:10  */
/* localReadsVacancy: latencyLeft 13 */
v_mfma_f32_32x32x8bf16_1k a[16+0:31+0], v[vgprValuB_X2_I0+0+2+0:vgprValuB_X2_I0+0+2+0+1], v[vgprValuA_X2_I0+4+2+0:vgprValuA_X2_I0+4+2+0+1], a[16:31]
/*  mfmaIndex:11  */
/* localReadsVacancy: latencyLeft 13 */
v_mfma_f32_32x32x8bf16_1k a[32+0:47+0], v[vgprValuB_X2_I0+0+2+0:vgprValuB_X2_I0+0+2+0+1], v[vgprValuA_X2_I0+8+2+0:vgprValuA_X2_I0+8+2+0+1], a[32:47]
/* numPrefetchIter=0 */
/* dataAtIterA=0 numReadsIterA=3 skipReadsIterA=2 readsPerIterA=3 */
/* dataAtIterB=0 numReadsIterB=3 skipReadsIterB=2 readsPerIterB=1 */


/* iter 4 (last unrolled loop) */

/*  grEndMfmaIndex:0, lwStartMfmaIndex:20, lwEndMfmaIndex:20  */
/*  numMfmaForLR:2, barrierMfmaIndex:21, LocalWritePerMfma:0.540 */
/*  mfmaIndex:12  */
/* localReadsVacancy: latencyLeft 13 */
s_waitcnt lgkmcnt(4)                               // lgkmcnt=0 vmcnt=-1wait for prior local read local write old=0, new=4 newLW=0 newLR=4
v_mfma_f32_32x32x8bf16_1k a[0+0:15+0], v[vgprValuB_X4_I0+0+0+0:vgprValuB_X4_I0+0+0+0+1], v[vgprValuA_X4_I0+0+0+0:vgprValuA_X4_I0+0+0+0+1], a[0:15]
/*  mfmaIndex:13  */
/* localReadsVacancy: latencyLeft 13 */
v_mfma_f32_32x32x8bf16_1k a[16+0:31+0], v[vgprValuB_X4_I0+0+0+0:vgprValuB_X4_I0+0+0+0+1], v[vgprValuA_X4_I0+4+0+0:vgprValuA_X4_I0+4+0+0+1], a[16:31]
/*  mfmaIndex:14  */
/* localReadsVacancy: latencyLeft 13 */
v_mfma_f32_32x32x8bf16_1k a[32+0:47+0], v[vgprValuB_X4_I0+0+0+0:vgprValuB_X4_I0+0+0+0+1], v[vgprValuA_X4_I0+8+0+0:vgprValuA_X4_I0+8+0+0+1], a[32:47]
/* numPrefetchIter=0 */
/* dataAtIterA=1 numReadsIterA=3 skipReadsIterA=1 readsPerIterA=3 */
/* dataAtIterB=1 numReadsIterB=3 skipReadsIterB=1 readsPerIterB=1 */


/* iter 5 (last unrolled loop) */

/*  grEndMfmaIndex:0, lwStartMfmaIndex:20, lwEndMfmaIndex:20  */
/*  numMfmaForLR:2, barrierMfmaIndex:21, LocalWritePerMfma:0.540 */
/*  mfmaIndex:15  */
/* localReadsVacancy: latencyLeft 13 */
s_waitcnt lgkmcnt(4)                               // lgkmcnt=0 vmcnt=-1wait for prior local read local write old=0, new=4 newLW=0 newLR=4
v_mfma_f32_32x32x8bf16_1k a[0+0:15+0], v[vgprValuB_X4_I0+0+2+0:vgprValuB_X4_I0+0+2+0+1], v[vgprValuA_X4_I0+0+2+0:vgprValuA_X4_I0+0+2+0+1], a[0:15]
/*  mfmaIndex:16  */
/* localReadsVacancy: latencyLeft 13 */
v_mfma_f32_32x32x8bf16_1k a[16+0:31+0], v[vgprValuB_X4_I0+0+2+0:vgprValuB_X4_I0+0+2+0+1], v[vgprValuA_X4_I0+4+2+0:vgprValuA_X4_I0+4+2+0+1], a[16:31]
/*  mfmaIndex:17  */
/* localReadsVacancy: latencyLeft 13 */
v_mfma_f32_32x32x8bf16_1k a[32+0:47+0], v[vgprValuB_X4_I0+0+2+0:vgprValuB_X4_I0+0+2+0+1], v[vgprValuA_X4_I0+8+2+0:vgprValuA_X4_I0+8+2+0+1], a[32:47]
/* numPrefetchIter=0 */
/* dataAtIterA=1 numReadsIterA=3 skipReadsIterA=1 readsPerIterA=3 */
/* dataAtIterB=1 numReadsIterB=3 skipReadsIterB=1 readsPerIterB=1 */


/* iter 6 (last unrolled loop) */

/*  grEndMfmaIndex:0, lwStartMfmaIndex:20, lwEndMfmaIndex:20  */
/*  numMfmaForLR:2, barrierMfmaIndex:21, LocalWritePerMfma:0.540 */
/*  mfmaIndex:18  */
/* localReadsVacancy: latencyLeft 13 */
s_waitcnt lgkmcnt(0)                               // lgkmcnt=0 vmcnt=-1wait for prior local read local write old=0, new=0 newLW=0 newLR=0
v_mfma_f32_32x32x8bf16_1k a[0+0:15+0], v[vgprValuB_X6_I0+0+0+0:vgprValuB_X6_I0+0+0+0+1], v[vgprValuA_X6_I0+0+0+0:vgprValuA_X6_I0+0+0+0+1], a[0:15]
/*  mfmaIndex:19  */
/* localReadsVacancy: latencyLeft 13 */
/* 1 LDS buffer: read-sync-write */
s_waitcnt lgkmcnt(0)                               // 
s_barrier                                          // 
v_mfma_f32_32x32x8bf16_1k a[16+0:31+0], v[vgprValuB_X6_I0+0+0+0:vgprValuB_X6_I0+0+0+0+1], v[vgprValuA_X6_I0+4+0+0:vgprValuA_X6_I0+4+0+0+1], a[16:31]
/*  mfmaIndex:20  */
/* localReadsVacancy: latencyLeft 13 */
v_mfma_f32_32x32x8bf16_1k a[32+0:47+0], v[vgprValuB_X6_I0+0+0+0:vgprValuB_X6_I0+0+0+0+1], v[vgprValuA_X6_I0+8+0+0:vgprValuA_X6_I0+8+0+0+1], a[32:47]
/* numPrefetchIter=0 */
/* dataAtIterA=2 numReadsIterA=3 skipReadsIterA=0 readsPerIterA=3 */
/* dataAtIterB=2 numReadsIterB=3 skipReadsIterB=0 readsPerIterB=1 */


/* iter 7 (last unrolled loop) */

/*  grEndMfmaIndex:0, lwStartMfmaIndex:20, lwEndMfmaIndex:20  */
/*  numMfmaForLR:2, barrierMfmaIndex:21, LocalWritePerMfma:0.540 */
/*  mfmaIndex:21  */
v_mfma_f32_32x32x8bf16_1k a[0+0:15+0], v[vgprValuB_X6_I0+0+2+0:vgprValuB_X6_I0+0+2+0+1], v[vgprValuA_X6_I0+0+2+0:vgprValuA_X6_I0+0+2+0+1], a[0:15]
/*  mfmaIndex:22  */
v_mfma_f32_32x32x8bf16_1k a[16+0:31+0], v[vgprValuB_X6_I0+0+2+0:vgprValuB_X6_I0+0+2+0+1], v[vgprValuA_X6_I0+4+2+0:vgprValuA_X6_I0+4+2+0+1], a[16:31]
	;; [unrolled: 2-line block ×3, first 2 shown]

/* Stores for OptNLL */
Summation_End_OptNLL_18:
/* endSummation: add vgpr [0...96) to pool */
.set NumFullBlocks, UNDEF
.set WgmRemainder1, UNDEF
.set MagicNumberWgmRemainder1, UNDEF

/* Mapping of Acc register -> C Vgpr register */
/* computeStoreVgprs */
v_lshrrev_b32 v4, 6, v[vgprSerial]                 // v4 = v[vgprSerial] / 64
v_and_b32 v1, 63, v[vgprSerial]                    // v1 = v[vgprSerial] % 64
v_lshrrev_b32 v1, 5, v1                            // v1 = v1 / 32
v_lshlrev_b32 v1, 0x2, v1                          // thread0 * continuous_output
v_lshrrev_b32 v5, 0, v4                            // v5 = v4 / 1
v_mul_lo_u32 v5, 0x20, v5                          // wave coordination offset 1
_v_add_lshl_u32 v1, v5, v1, 0                      // coordination 1 = vwb *(wave_id1 + tid1)
v_mul_lo_u32 v2, v1, s[sgprStrideC1J]              //  offset 1
v_mul_lo_u32 v3, v1, s[sgprStrideD1J]              //  offset 1
v_and_b32 v5, 0, v4                                // v5 = v4 % 1
v_and_b32 v0, 31, v[vgprSerial]                    // v0 = v[vgprSerial] % 32
_v_add_lshl_u32 v0, v5, v0, 0                      // coordination 0 = vwa *(wave_id0 + tid0)
s_mul_i32 s52, 96, s[sgprWorkGroup0]               // wgp0 * MT0
_v_add_u32 v0, s52, v0                             // coord 0 = (tid0/MI_m)*4 + waveG0*MIB_m + MT0*SG0
s_mul_i32 s52, 128, s[sgprWorkGroup1]              // wgp1 * MT1
_v_add_u32 v1, s52, v1                             // coord 1 = (tid0%MI_m) + waveG1*MIB_n + MT1*SG1
GW_B0_E0_21:

/* edge=0, allocate 2 sgpr. perBatchTmpS=2 perBatchMaskS=0 perElementMaskS=0 elementsPerBatch=192 */
/* optSingleColVgpr=1 optSharedColVgpr=0 optSGPRUsage=BufferLoad_Mask optSrdIncForRow=1 */
s_sleep 3 // optimization: sync and wait
s_barrier

/******************************************/
/* Global Write Batch #0 (d1,d0,vc1,vc0) = */
/*    (0,0,0,0:vw1); (0,1,0,0:vw1); (0,2,0,0:vw1); (0,0,1,0:vw1); (0,1,1,0:vw1); (0,2,1,0:vw1); (0,0,2,0:vw1); (0,1,2,0:vw1); (0,2,2,0:vw1); (0,0,3,0:vw1); (0,1,3,0:vw1); (0,2,3,0:vw1); (1,0,0,0:vw1); (1,1,0,0:vw1); (1,2,0,0:vw1); (1,0,1,0:vw1); (1,1,1,0:vw1); (1,2,1,0:vw1); (1,0,2,0:vw1); (1,1,2,0:vw1); (1,2,2,0:vw1); (1,0,3,0:vw1); (1,1,3,0:vw1); (1,2,3,0:vw1); (2,0,0,0:vw1); (2,1,0,0:vw1); (2,2,0,0:vw1); (2,0,1,0:vw1); (2,1,1,0:vw1); (2,2,1,0:vw1); (2,0,2,0:vw1); (2,1,2,0:vw1); (2,2,2,0:vw1); (2,0,3,0:vw1); (2,1,3,0:vw1); (2,2,3,0:vw1); (3,0,0,0:vw1); (3,1,0,0:vw1); (3,2,0,0:vw1); (3,0,1,0:vw1); (3,1,1,0:vw1); (3,2,1,0:vw1); (3,0,2,0:vw1); (3,1,2,0:vw1); (3,2,2,0:vw1); (3,0,3,0:vw1); (3,1,3,0:vw1); (3,2,3,0:vw1) */
/******************************************/

/* calc coords, apply mask, and issue loads (if necessary) */
/* (d1,vc1,d0,vc0)=(0,0,0,0) */
/* (d1,vc1,d0,vc0)=(0,0,1,0) */
	;; [unrolled: 1-line block ×48, first 2 shown]
_v_add_lshl_u32 v10, v3, v0, 0x1                   // optSingleColVgpr scaleToBpe: sharedAddrVgpr <- cinRowPtr + coord0, scaled by BPE. BSHERE:coord0=0, coord0Vgpr=0
v_accvgpr_read_b32 v[vgprValuC+12], acc0 // copy acc to vreg[0]
v_accvgpr_read_b32 v[vgprValuC+13], acc16 // copy acc to vreg[1]
v_accvgpr_read_b32 v[vgprValuC+14], acc32 // copy acc to vreg[2]
v_accvgpr_read_b32 v[vgprValuC+15], acc1 // copy acc to vreg[3]
v_accvgpr_read_b32 v[vgprValuC+16], acc17 // copy acc to vreg[4]
v_accvgpr_read_b32 v[vgprValuC+17], acc33 // copy acc to vreg[5]
v_accvgpr_read_b32 v[vgprValuC+18], acc2 // copy acc to vreg[6]
v_accvgpr_read_b32 v[vgprValuC+19], acc18 // copy acc to vreg[7]
v_accvgpr_read_b32 v[vgprValuC+20], acc34 // copy acc to vreg[8]
v_accvgpr_read_b32 v[vgprValuC+21], acc3 // copy acc to vreg[9]
v_accvgpr_read_b32 v[vgprValuC+22], acc19 // copy acc to vreg[10]
v_accvgpr_read_b32 v[vgprValuC+23], acc35 // copy acc to vreg[11]
v_accvgpr_read_b32 v[vgprValuC+24], acc4 // copy acc to vreg[12]
v_accvgpr_read_b32 v[vgprValuC+25], acc20 // copy acc to vreg[13]
v_accvgpr_read_b32 v[vgprValuC+26], acc36 // copy acc to vreg[14]
v_accvgpr_read_b32 v[vgprValuC+27], acc5 // copy acc to vreg[15]
v_accvgpr_read_b32 v[vgprValuC+28], acc21 // copy acc to vreg[16]
v_accvgpr_read_b32 v[vgprValuC+29], acc37 // copy acc to vreg[17]
v_accvgpr_read_b32 v[vgprValuC+30], acc6 // copy acc to vreg[18]
v_accvgpr_read_b32 v[vgprValuC+31], acc22 // copy acc to vreg[19]
v_accvgpr_read_b32 v[vgprValuC+32], acc38 // copy acc to vreg[20]
v_accvgpr_read_b32 v[vgprValuC+33], acc7 // copy acc to vreg[21]
v_accvgpr_read_b32 v[vgprValuC+34], acc23 // copy acc to vreg[22]
v_accvgpr_read_b32 v[vgprValuC+35], acc39 // copy acc to vreg[23]
v_accvgpr_read_b32 v[vgprValuC+36], acc8 // copy acc to vreg[24]
v_accvgpr_read_b32 v[vgprValuC+37], acc24 // copy acc to vreg[25]
v_accvgpr_read_b32 v[vgprValuC+38], acc40 // copy acc to vreg[26]
v_accvgpr_read_b32 v[vgprValuC+39], acc9 // copy acc to vreg[27]
v_accvgpr_read_b32 v[vgprValuC+40], acc25 // copy acc to vreg[28]
v_accvgpr_read_b32 v[vgprValuC+41], acc41 // copy acc to vreg[29]
v_accvgpr_read_b32 v[vgprValuC+42], acc10 // copy acc to vreg[30]
v_accvgpr_read_b32 v[vgprValuC+43], acc26 // copy acc to vreg[31]
v_accvgpr_read_b32 v[vgprValuC+44], acc42 // copy acc to vreg[32]
v_accvgpr_read_b32 v[vgprValuC+45], acc11 // copy acc to vreg[33]
v_accvgpr_read_b32 v[vgprValuC+46], acc27 // copy acc to vreg[34]
v_accvgpr_read_b32 v[vgprValuC+47], acc43 // copy acc to vreg[35]
v_accvgpr_read_b32 v[vgprValuC+48], acc12 // copy acc to vreg[36]
v_accvgpr_read_b32 v[vgprValuC+49], acc28 // copy acc to vreg[37]
v_accvgpr_read_b32 v[vgprValuC+50], acc44 // copy acc to vreg[38]
v_accvgpr_read_b32 v[vgprValuC+51], acc13 // copy acc to vreg[39]
v_accvgpr_read_b32 v[vgprValuC+52], acc29 // copy acc to vreg[40]
v_accvgpr_read_b32 v[vgprValuC+53], acc45 // copy acc to vreg[41]
v_accvgpr_read_b32 v[vgprValuC+54], acc14 // copy acc to vreg[42]
v_accvgpr_read_b32 v[vgprValuC+55], acc30 // copy acc to vreg[43]
v_accvgpr_read_b32 v[vgprValuC+56], acc46 // copy acc to vreg[44]
v_accvgpr_read_b32 v[vgprValuC+57], acc15 // copy acc to vreg[45]
v_accvgpr_read_b32 v[vgprValuC+58], acc31 // copy acc to vreg[46]
v_accvgpr_read_b32 v[vgprValuC+59], acc47 // copy acc to vreg[47]
s_nop 1                                            // 2 wait states required before reading vgpr

/* apply mask, calc new C and issue writes */
v_mov_b32 v7, 0xffff0000                           // mask for pack two bfloat16 element to 32bit
v_mov_b32 v8, 0x7fff0000                           // fp32 Nan
v_mov_b32 v9, 0x7fff                               // rounding bias for bfloat16
v_cmp_u_f32 s[52:53], v[vgprValuC+12], v[vgprValuC+12] // check Nan
v_bfe_u32 v6, v[vgprValuC+12], 16, 1               // Non-Nan case: store lsb of bf16
v_add3_u32 v6, v[vgprValuC+12], v6, v9             // Non-Nan case: add lsb and the increment for rounding
v_cndmask_b32 v[vgprValuC+12], v6, v8, s[52:53]    // 
v_lshrrev_b32 v[vgprValuC+12], 16, v[vgprValuC+12] // convert C to bf16
_buffer_store_b16 v12, v10, s[sgprSrdD:sgprSrdD+3], 0, offen, offset:0 // store D
v_cmp_u_f32 s[52:53], v[vgprValuC+13], v[vgprValuC+13] // check Nan
v_bfe_u32 v6, v[vgprValuC+13], 16, 1               // Non-Nan case: store lsb of bf16
v_add3_u32 v6, v[vgprValuC+13], v6, v9             // Non-Nan case: add lsb and the increment for rounding
v_cndmask_b32 v[vgprValuC+13], v6, v8, s[52:53]    // 
v_lshrrev_b32 v[vgprValuC+13], 16, v[vgprValuC+13] // convert C to bf16
_buffer_store_b16 v13, v10, s[sgprSrdD:sgprSrdD+3], 0, offen, offset:64 // store D
	;; [unrolled: 6-line block ×3, first 2 shown]
v_cmp_u_f32 s[52:53], v[vgprValuC+15], v[vgprValuC+15] // check Nan
v_bfe_u32 v6, v[vgprValuC+15], 16, 1               // Non-Nan case: store lsb of bf16
v_add3_u32 v6, v[vgprValuC+15], v6, v9             // Non-Nan case: add lsb and the increment for rounding
v_cndmask_b32 v[vgprValuC+15], v6, v8, s[52:53]    // 
v_lshrrev_b32 v[vgprValuC+15], 16, v[vgprValuC+15] // convert C to bf16
s_lshl_b32  s52, s[sgprStrideD1J], 1               // incToNextRow: Scale by BPE
s_add_u32  s[sgprSrdD+0], s[sgprSrdD+0], s52       // incToNextRow: gra SRD += inc(lower)
s_addc_u32  s[sgprSrdD+1], s[sgprSrdD+1], 0        // incToNextRow: gra SRD += inc(upper)
_buffer_store_b16 v15, v10, s[sgprSrdD:sgprSrdD+3], 0, offen, offset:0 // store D
v_cmp_u_f32 s[52:53], v[vgprValuC+16], v[vgprValuC+16] // check Nan
v_bfe_u32 v6, v[vgprValuC+16], 16, 1               // Non-Nan case: store lsb of bf16
v_add3_u32 v6, v[vgprValuC+16], v6, v9             // Non-Nan case: add lsb and the increment for rounding
v_cndmask_b32 v[vgprValuC+16], v6, v8, s[52:53]    // 
v_lshrrev_b32 v[vgprValuC+16], 16, v[vgprValuC+16] // convert C to bf16
_buffer_store_b16 v16, v10, s[sgprSrdD:sgprSrdD+3], 0, offen, offset:64 // store D
v_cmp_u_f32 s[52:53], v[vgprValuC+17], v[vgprValuC+17] // check Nan
v_bfe_u32 v6, v[vgprValuC+17], 16, 1               // Non-Nan case: store lsb of bf16
v_add3_u32 v6, v[vgprValuC+17], v6, v9             // Non-Nan case: add lsb and the increment for rounding
v_cndmask_b32 v[vgprValuC+17], v6, v8, s[52:53]    // 
v_lshrrev_b32 v[vgprValuC+17], 16, v[vgprValuC+17] // convert C to bf16
_buffer_store_b16 v17, v10, s[sgprSrdD:sgprSrdD+3], 0, offen, offset:128 // store D
v_cmp_u_f32 s[52:53], v[vgprValuC+18], v[vgprValuC+18] // check Nan
v_bfe_u32 v6, v[vgprValuC+18], 16, 1               // Non-Nan case: store lsb of bf16
v_add3_u32 v6, v[vgprValuC+18], v6, v9             // Non-Nan case: add lsb and the increment for rounding
v_cndmask_b32 v[vgprValuC+18], v6, v8, s[52:53]    // 
v_lshrrev_b32 v[vgprValuC+18], 16, v[vgprValuC+18] // convert C to bf16
s_lshl_b32  s52, s[sgprStrideD1J], 1               // incToNextRow: Scale by BPE
s_add_u32  s[sgprSrdD+0], s[sgprSrdD+0], s52       // incToNextRow: gra SRD += inc(lower)
s_addc_u32  s[sgprSrdD+1], s[sgprSrdD+1], 0        // incToNextRow: gra SRD += inc(upper)
_buffer_store_b16 v18, v10, s[sgprSrdD:sgprSrdD+3], 0, offen, offset:0 // store D
v_cmp_u_f32 s[52:53], v[vgprValuC+19], v[vgprValuC+19] // check Nan
v_bfe_u32 v6, v[vgprValuC+19], 16, 1               // Non-Nan case: store lsb of bf16
v_add3_u32 v6, v[vgprValuC+19], v6, v9             // Non-Nan case: add lsb and the increment for rounding
v_cndmask_b32 v[vgprValuC+19], v6, v8, s[52:53]    // 
v_lshrrev_b32 v[vgprValuC+19], 16, v[vgprValuC+19] // convert C to bf16
_buffer_store_b16 v19, v10, s[sgprSrdD:sgprSrdD+3], 0, offen, offset:64 // store D
v_cmp_u_f32 s[52:53], v[vgprValuC+20], v[vgprValuC+20] // check Nan
v_bfe_u32 v6, v[vgprValuC+20], 16, 1               // Non-Nan case: store lsb of bf16
v_add3_u32 v6, v[vgprValuC+20], v6, v9             // Non-Nan case: add lsb and the increment for rounding
v_cndmask_b32 v[vgprValuC+20], v6, v8, s[52:53]    // 
v_lshrrev_b32 v[vgprValuC+20], 16, v[vgprValuC+20] // convert C to bf16
_buffer_store_b16 v20, v10, s[sgprSrdD:sgprSrdD+3], 0, offen, offset:128 // store D
	;; [unrolled: 21-line block ×3, first 2 shown]
v_cmp_u_f32 s[52:53], v[vgprValuC+24], v[vgprValuC+24] // check Nan
v_bfe_u32 v6, v[vgprValuC+24], 16, 1               // Non-Nan case: store lsb of bf16
v_add3_u32 v6, v[vgprValuC+24], v6, v9             // Non-Nan case: add lsb and the increment for rounding
v_cndmask_b32 v[vgprValuC+24], v6, v8, s[52:53]    // 
v_lshrrev_b32 v[vgprValuC+24], 16, v[vgprValuC+24] // convert C to bf16
s_mul_i32 s52, s[sgprStrideD1J], 10                // scale StrideD *= numRows(5) * bpe
s_add_u32  s[sgprSrdD+0], s[sgprSrdD+0], s52       // incToNextRow: gra SRD += inc(lower)
s_addc_u32  s[sgprSrdD+1], s[sgprSrdD+1], 0        // incToNextRow: gra SRD += inc(upper)
_buffer_store_b16 v24, v10, s[sgprSrdD:sgprSrdD+3], 0, offen, offset:0 // store D
v_cmp_u_f32 s[52:53], v[vgprValuC+25], v[vgprValuC+25] // check Nan
v_bfe_u32 v6, v[vgprValuC+25], 16, 1               // Non-Nan case: store lsb of bf16
v_add3_u32 v6, v[vgprValuC+25], v6, v9             // Non-Nan case: add lsb and the increment for rounding
v_cndmask_b32 v[vgprValuC+25], v6, v8, s[52:53]    // 
v_lshrrev_b32 v[vgprValuC+25], 16, v[vgprValuC+25] // convert C to bf16
_buffer_store_b16 v25, v10, s[sgprSrdD:sgprSrdD+3], 0, offen, offset:64 // store D
v_cmp_u_f32 s[52:53], v[vgprValuC+26], v[vgprValuC+26] // check Nan
v_bfe_u32 v6, v[vgprValuC+26], 16, 1               // Non-Nan case: store lsb of bf16
v_add3_u32 v6, v[vgprValuC+26], v6, v9             // Non-Nan case: add lsb and the increment for rounding
v_cndmask_b32 v[vgprValuC+26], v6, v8, s[52:53]    // 
v_lshrrev_b32 v[vgprValuC+26], 16, v[vgprValuC+26] // convert C to bf16
_buffer_store_b16 v26, v10, s[sgprSrdD:sgprSrdD+3], 0, offen, offset:128 // store D
v_cmp_u_f32 s[52:53], v[vgprValuC+27], v[vgprValuC+27] // check Nan
v_bfe_u32 v6, v[vgprValuC+27], 16, 1               // Non-Nan case: store lsb of bf16
v_add3_u32 v6, v[vgprValuC+27], v6, v9             // Non-Nan case: add lsb and the increment for rounding
v_cndmask_b32 v[vgprValuC+27], v6, v8, s[52:53]    // 
v_lshrrev_b32 v[vgprValuC+27], 16, v[vgprValuC+27] // convert C to bf16
s_lshl_b32  s52, s[sgprStrideD1J], 1               // incToNextRow: Scale by BPE
s_add_u32  s[sgprSrdD+0], s[sgprSrdD+0], s52       // incToNextRow: gra SRD += inc(lower)
s_addc_u32  s[sgprSrdD+1], s[sgprSrdD+1], 0        // incToNextRow: gra SRD += inc(upper)
_buffer_store_b16 v27, v10, s[sgprSrdD:sgprSrdD+3], 0, offen, offset:0 // store D
v_cmp_u_f32 s[52:53], v[vgprValuC+28], v[vgprValuC+28] // check Nan
v_bfe_u32 v6, v[vgprValuC+28], 16, 1               // Non-Nan case: store lsb of bf16
v_add3_u32 v6, v[vgprValuC+28], v6, v9             // Non-Nan case: add lsb and the increment for rounding
v_cndmask_b32 v[vgprValuC+28], v6, v8, s[52:53]    // 
v_lshrrev_b32 v[vgprValuC+28], 16, v[vgprValuC+28] // convert C to bf16
_buffer_store_b16 v28, v10, s[sgprSrdD:sgprSrdD+3], 0, offen, offset:64 // store D
v_cmp_u_f32 s[52:53], v[vgprValuC+29], v[vgprValuC+29] // check Nan
v_bfe_u32 v6, v[vgprValuC+29], 16, 1               // Non-Nan case: store lsb of bf16
v_add3_u32 v6, v[vgprValuC+29], v6, v9             // Non-Nan case: add lsb and the increment for rounding
v_cndmask_b32 v[vgprValuC+29], v6, v8, s[52:53]    // 
v_lshrrev_b32 v[vgprValuC+29], 16, v[vgprValuC+29] // convert C to bf16
_buffer_store_b16 v29, v10, s[sgprSrdD:sgprSrdD+3], 0, offen, offset:128 // store D
v_cmp_u_f32 s[52:53], v[vgprValuC+30], v[vgprValuC+30] // check Nan
v_bfe_u32 v6, v[vgprValuC+30], 16, 1               // Non-Nan case: store lsb of bf16
v_add3_u32 v6, v[vgprValuC+30], v6, v9             // Non-Nan case: add lsb and the increment for rounding
v_cndmask_b32 v[vgprValuC+30], v6, v8, s[52:53]    // 
v_lshrrev_b32 v[vgprValuC+30], 16, v[vgprValuC+30] // convert C to bf16
s_lshl_b32  s52, s[sgprStrideD1J], 1               // incToNextRow: Scale by BPE
	;; [unrolled: 21-line block ×3, first 2 shown]
s_add_u32  s[sgprSrdD+0], s[sgprSrdD+0], s52       // incToNextRow: gra SRD += inc(lower)
s_addc_u32  s[sgprSrdD+1], s[sgprSrdD+1], 0        // incToNextRow: gra SRD += inc(upper)
_buffer_store_b16 v33, v10, s[sgprSrdD:sgprSrdD+3], 0, offen, offset:0 // store D
v_cmp_u_f32 s[52:53], v[vgprValuC+34], v[vgprValuC+34] // check Nan
v_bfe_u32 v6, v[vgprValuC+34], 16, 1               // Non-Nan case: store lsb of bf16
v_add3_u32 v6, v[vgprValuC+34], v6, v9             // Non-Nan case: add lsb and the increment for rounding
v_cndmask_b32 v[vgprValuC+34], v6, v8, s[52:53]    // 
v_lshrrev_b32 v[vgprValuC+34], 16, v[vgprValuC+34] // convert C to bf16
_buffer_store_b16 v34, v10, s[sgprSrdD:sgprSrdD+3], 0, offen, offset:64 // store D
v_cmp_u_f32 s[52:53], v[vgprValuC+35], v[vgprValuC+35] // check Nan
v_bfe_u32 v6, v[vgprValuC+35], 16, 1               // Non-Nan case: store lsb of bf16
v_add3_u32 v6, v[vgprValuC+35], v6, v9             // Non-Nan case: add lsb and the increment for rounding
v_cndmask_b32 v[vgprValuC+35], v6, v8, s[52:53]    // 
v_lshrrev_b32 v[vgprValuC+35], 16, v[vgprValuC+35] // convert C to bf16
	;; [unrolled: 6-line block ×3, first 2 shown]
s_mul_i32 s52, s[sgprStrideD1J], 10                // scale StrideD *= numRows(5) * bpe
s_add_u32  s[sgprSrdD+0], s[sgprSrdD+0], s52       // incToNextRow: gra SRD += inc(lower)
s_addc_u32  s[sgprSrdD+1], s[sgprSrdD+1], 0        // incToNextRow: gra SRD += inc(upper)
_buffer_store_b16 v36, v10, s[sgprSrdD:sgprSrdD+3], 0, offen, offset:0 // store D
v_cmp_u_f32 s[52:53], v[vgprValuC+37], v[vgprValuC+37] // check Nan
v_bfe_u32 v6, v[vgprValuC+37], 16, 1               // Non-Nan case: store lsb of bf16
v_add3_u32 v6, v[vgprValuC+37], v6, v9             // Non-Nan case: add lsb and the increment for rounding
v_cndmask_b32 v[vgprValuC+37], v6, v8, s[52:53]    // 
v_lshrrev_b32 v[vgprValuC+37], 16, v[vgprValuC+37] // convert C to bf16
_buffer_store_b16 v37, v10, s[sgprSrdD:sgprSrdD+3], 0, offen, offset:64 // store D
v_cmp_u_f32 s[52:53], v[vgprValuC+38], v[vgprValuC+38] // check Nan
v_bfe_u32 v6, v[vgprValuC+38], 16, 1               // Non-Nan case: store lsb of bf16
v_add3_u32 v6, v[vgprValuC+38], v6, v9             // Non-Nan case: add lsb and the increment for rounding
v_cndmask_b32 v[vgprValuC+38], v6, v8, s[52:53]    // 
v_lshrrev_b32 v[vgprValuC+38], 16, v[vgprValuC+38] // convert C to bf16
_buffer_store_b16 v38, v10, s[sgprSrdD:sgprSrdD+3], 0, offen, offset:128 // store D
v_cmp_u_f32 s[52:53], v[vgprValuC+39], v[vgprValuC+39] // check Nan
v_bfe_u32 v6, v[vgprValuC+39], 16, 1               // Non-Nan case: store lsb of bf16
v_add3_u32 v6, v[vgprValuC+39], v6, v9             // Non-Nan case: add lsb and the increment for rounding
v_cndmask_b32 v[vgprValuC+39], v6, v8, s[52:53]    // 
v_lshrrev_b32 v[vgprValuC+39], 16, v[vgprValuC+39] // convert C to bf16
s_lshl_b32  s52, s[sgprStrideD1J], 1               // incToNextRow: Scale by BPE
s_add_u32  s[sgprSrdD+0], s[sgprSrdD+0], s52       // incToNextRow: gra SRD += inc(lower)
s_addc_u32  s[sgprSrdD+1], s[sgprSrdD+1], 0        // incToNextRow: gra SRD += inc(upper)
_buffer_store_b16 v39, v10, s[sgprSrdD:sgprSrdD+3], 0, offen, offset:0 // store D
v_cmp_u_f32 s[52:53], v[vgprValuC+40], v[vgprValuC+40] // check Nan
v_bfe_u32 v6, v[vgprValuC+40], 16, 1               // Non-Nan case: store lsb of bf16
v_add3_u32 v6, v[vgprValuC+40], v6, v9             // Non-Nan case: add lsb and the increment for rounding
v_cndmask_b32 v[vgprValuC+40], v6, v8, s[52:53]    // 
v_lshrrev_b32 v[vgprValuC+40], 16, v[vgprValuC+40] // convert C to bf16
_buffer_store_b16 v40, v10, s[sgprSrdD:sgprSrdD+3], 0, offen, offset:64 // store D
v_cmp_u_f32 s[52:53], v[vgprValuC+41], v[vgprValuC+41] // check Nan
v_bfe_u32 v6, v[vgprValuC+41], 16, 1               // Non-Nan case: store lsb of bf16
v_add3_u32 v6, v[vgprValuC+41], v6, v9             // Non-Nan case: add lsb and the increment for rounding
v_cndmask_b32 v[vgprValuC+41], v6, v8, s[52:53]    // 
v_lshrrev_b32 v[vgprValuC+41], 16, v[vgprValuC+41] // convert C to bf16
_buffer_store_b16 v41, v10, s[sgprSrdD:sgprSrdD+3], 0, offen, offset:128 // store D
v_cmp_u_f32 s[52:53], v[vgprValuC+42], v[vgprValuC+42] // check Nan
v_bfe_u32 v6, v[vgprValuC+42], 16, 1               // Non-Nan case: store lsb of bf16
v_add3_u32 v6, v[vgprValuC+42], v6, v9             // Non-Nan case: add lsb and the increment for rounding
v_cndmask_b32 v[vgprValuC+42], v6, v8, s[52:53]    // 
v_lshrrev_b32 v[vgprValuC+42], 16, v[vgprValuC+42] // convert C to bf16
s_lshl_b32  s52, s[sgprStrideD1J], 1               // incToNextRow: Scale by BPE
	;; [unrolled: 21-line block ×3, first 2 shown]
s_add_u32  s[sgprSrdD+0], s[sgprSrdD+0], s52       // incToNextRow: gra SRD += inc(lower)
s_addc_u32  s[sgprSrdD+1], s[sgprSrdD+1], 0        // incToNextRow: gra SRD += inc(upper)
_buffer_store_b16 v45, v10, s[sgprSrdD:sgprSrdD+3], 0, offen, offset:0 // store D
v_cmp_u_f32 s[52:53], v[vgprValuC+46], v[vgprValuC+46] // check Nan
v_bfe_u32 v6, v[vgprValuC+46], 16, 1               // Non-Nan case: store lsb of bf16
v_add3_u32 v6, v[vgprValuC+46], v6, v9             // Non-Nan case: add lsb and the increment for rounding
v_cndmask_b32 v[vgprValuC+46], v6, v8, s[52:53]    // 
v_lshrrev_b32 v[vgprValuC+46], 16, v[vgprValuC+46] // convert C to bf16
_buffer_store_b16 v46, v10, s[sgprSrdD:sgprSrdD+3], 0, offen, offset:64 // store D
v_cmp_u_f32 s[52:53], v[vgprValuC+47], v[vgprValuC+47] // check Nan
v_bfe_u32 v6, v[vgprValuC+47], 16, 1               // Non-Nan case: store lsb of bf16
v_add3_u32 v6, v[vgprValuC+47], v6, v9             // Non-Nan case: add lsb and the increment for rounding
v_cndmask_b32 v[vgprValuC+47], v6, v8, s[52:53]    // 
v_lshrrev_b32 v[vgprValuC+47], 16, v[vgprValuC+47] // convert C to bf16
	;; [unrolled: 6-line block ×3, first 2 shown]
s_mul_i32 s52, s[sgprStrideD1J], 10                // scale StrideD *= numRows(5) * bpe
s_add_u32  s[sgprSrdD+0], s[sgprSrdD+0], s52       // incToNextRow: gra SRD += inc(lower)
s_addc_u32  s[sgprSrdD+1], s[sgprSrdD+1], 0        // incToNextRow: gra SRD += inc(upper)
_buffer_store_b16 v48, v10, s[sgprSrdD:sgprSrdD+3], 0, offen, offset:0 // store D
v_cmp_u_f32 s[52:53], v[vgprValuC+49], v[vgprValuC+49] // check Nan
v_bfe_u32 v6, v[vgprValuC+49], 16, 1               // Non-Nan case: store lsb of bf16
v_add3_u32 v6, v[vgprValuC+49], v6, v9             // Non-Nan case: add lsb and the increment for rounding
v_cndmask_b32 v[vgprValuC+49], v6, v8, s[52:53]    // 
v_lshrrev_b32 v[vgprValuC+49], 16, v[vgprValuC+49] // convert C to bf16
_buffer_store_b16 v49, v10, s[sgprSrdD:sgprSrdD+3], 0, offen, offset:64 // store D
v_cmp_u_f32 s[52:53], v[vgprValuC+50], v[vgprValuC+50] // check Nan
v_bfe_u32 v6, v[vgprValuC+50], 16, 1               // Non-Nan case: store lsb of bf16
v_add3_u32 v6, v[vgprValuC+50], v6, v9             // Non-Nan case: add lsb and the increment for rounding
v_cndmask_b32 v[vgprValuC+50], v6, v8, s[52:53]    // 
v_lshrrev_b32 v[vgprValuC+50], 16, v[vgprValuC+50] // convert C to bf16
_buffer_store_b16 v50, v10, s[sgprSrdD:sgprSrdD+3], 0, offen, offset:128 // store D
v_cmp_u_f32 s[52:53], v[vgprValuC+51], v[vgprValuC+51] // check Nan
v_bfe_u32 v6, v[vgprValuC+51], 16, 1               // Non-Nan case: store lsb of bf16
v_add3_u32 v6, v[vgprValuC+51], v6, v9             // Non-Nan case: add lsb and the increment for rounding
v_cndmask_b32 v[vgprValuC+51], v6, v8, s[52:53]    // 
v_lshrrev_b32 v[vgprValuC+51], 16, v[vgprValuC+51] // convert C to bf16
s_lshl_b32  s52, s[sgprStrideD1J], 1               // incToNextRow: Scale by BPE
s_add_u32  s[sgprSrdD+0], s[sgprSrdD+0], s52       // incToNextRow: gra SRD += inc(lower)
s_addc_u32  s[sgprSrdD+1], s[sgprSrdD+1], 0        // incToNextRow: gra SRD += inc(upper)
_buffer_store_b16 v51, v10, s[sgprSrdD:sgprSrdD+3], 0, offen, offset:0 // store D
v_cmp_u_f32 s[52:53], v[vgprValuC+52], v[vgprValuC+52] // check Nan
v_bfe_u32 v6, v[vgprValuC+52], 16, 1               // Non-Nan case: store lsb of bf16
v_add3_u32 v6, v[vgprValuC+52], v6, v9             // Non-Nan case: add lsb and the increment for rounding
v_cndmask_b32 v[vgprValuC+52], v6, v8, s[52:53]    // 
v_lshrrev_b32 v[vgprValuC+52], 16, v[vgprValuC+52] // convert C to bf16
_buffer_store_b16 v52, v10, s[sgprSrdD:sgprSrdD+3], 0, offen, offset:64 // store D
v_cmp_u_f32 s[52:53], v[vgprValuC+53], v[vgprValuC+53] // check Nan
v_bfe_u32 v6, v[vgprValuC+53], 16, 1               // Non-Nan case: store lsb of bf16
v_add3_u32 v6, v[vgprValuC+53], v6, v9             // Non-Nan case: add lsb and the increment for rounding
v_cndmask_b32 v[vgprValuC+53], v6, v8, s[52:53]    // 
v_lshrrev_b32 v[vgprValuC+53], 16, v[vgprValuC+53] // convert C to bf16
_buffer_store_b16 v53, v10, s[sgprSrdD:sgprSrdD+3], 0, offen, offset:128 // store D
v_cmp_u_f32 s[52:53], v[vgprValuC+54], v[vgprValuC+54] // check Nan
v_bfe_u32 v6, v[vgprValuC+54], 16, 1               // Non-Nan case: store lsb of bf16
v_add3_u32 v6, v[vgprValuC+54], v6, v9             // Non-Nan case: add lsb and the increment for rounding
v_cndmask_b32 v[vgprValuC+54], v6, v8, s[52:53]    // 
v_lshrrev_b32 v[vgprValuC+54], 16, v[vgprValuC+54] // convert C to bf16
s_lshl_b32  s52, s[sgprStrideD1J], 1               // incToNextRow: Scale by BPE
	;; [unrolled: 21-line block ×3, first 2 shown]
s_add_u32  s[sgprSrdD+0], s[sgprSrdD+0], s52       // incToNextRow: gra SRD += inc(lower)
s_addc_u32  s[sgprSrdD+1], s[sgprSrdD+1], 0        // incToNextRow: gra SRD += inc(upper)
_buffer_store_b16 v57, v10, s[sgprSrdD:sgprSrdD+3], 0, offen, offset:0 // store D
v_cmp_u_f32 s[52:53], v[vgprValuC+58], v[vgprValuC+58] // check Nan
v_bfe_u32 v6, v[vgprValuC+58], 16, 1               // Non-Nan case: store lsb of bf16
v_add3_u32 v6, v[vgprValuC+58], v6, v9             // Non-Nan case: add lsb and the increment for rounding
v_cndmask_b32 v[vgprValuC+58], v6, v8, s[52:53]    // 
v_lshrrev_b32 v[vgprValuC+58], 16, v[vgprValuC+58] // convert C to bf16
_buffer_store_b16 v58, v10, s[sgprSrdD:sgprSrdD+3], 0, offen, offset:64 // store D
v_cmp_u_f32 s[52:53], v[vgprValuC+59], v[vgprValuC+59] // check Nan
v_bfe_u32 v6, v[vgprValuC+59], 16, 1               // Non-Nan case: store lsb of bf16
v_add3_u32 v6, v[vgprValuC+59], v6, v9             // Non-Nan case: add lsb and the increment for rounding
v_cndmask_b32 v[vgprValuC+59], v6, v8, s[52:53]    // 
v_lshrrev_b32 v[vgprValuC+59], 16, v[vgprValuC+59] // convert C to bf16
_buffer_store_b16 v59, v10, s[sgprSrdD:sgprSrdD+3], 0, offen, offset:128 // store D
s_nop 0                                            // 1 wait state required when next inst writes vgprs held by previous dwordx4 store inst
s_branch label_GW_End_23                           // jump to end
label_GW_End_23:

s_endpgm                                           // Kernel End
OptNLL_End_17:


/******************************************/
/* Ord. NoLoadLoop - Begin                                      */
/******************************************/


	;; [unrolled: 1-line block ×4, first 2 shown]
/* iter 0 (last unrolled loop) */

/*  grEndMfmaIndex:0, lwStartMfmaIndex:20, lwEndMfmaIndex:20  */
/*  numMfmaForLR:2, barrierMfmaIndex:21, LocalWritePerMfma:0.540 */
/*  mfmaIndex:0  */
s_waitcnt lgkmcnt(0)                               // lgkmcnt=0 vmcnt=-1wait for prior local read local write old=0, new=0 newLW=0 newLR=0
v_mfma_f32_32x32x8bf16_1k a[0+0:15+0], v[vgprValuB_X0_I0+0+0+0:vgprValuB_X0_I0+0+0+0+1], v[vgprValuA_X0_I0+0+0+0:vgprValuA_X0_I0+0+0+0+1], a[0:15]
/*  mfmaIndex:1  */
_ds_load_b128 v[vgprValuA_X2_I0+0:vgprValuA_X2_I0+0+3], v[vgprLocalReadAddrA] offset:32 // L -> Reg lro=16 swapByteOffset=0 ti=32 vIdx=0 rIdx=0 oIdx=0 buffer=2 iui=0
_ds_load_b128 v[vgprValuB_X2_I0+0:vgprValuB_X2_I0+0+3], v[vgprLocalReadAddrB] offset:32 // L -> Reg lro=16 swapByteOffset=0 ti=128 vIdx=0 rIdx=0 oIdx=0 buffer=2 iui=0
_ds_load_b128 v[vgprValuA_X2_I0+4:vgprValuA_X2_I0+4+3], v[vgprLocalReadAddrA] offset:4640 // L -> Reg lro=16 swapByteOffset=0 ti=32 vIdx=1 rIdx=0 oIdx=0 buffer=2 iui=0
v_mfma_f32_32x32x8bf16_1k a[16+0:31+0], v[vgprValuB_X0_I0+0+0+0:vgprValuB_X0_I0+0+0+0+1], v[vgprValuA_X0_I0+4+0+0:vgprValuA_X0_I0+4+0+0+1], a[16:31]
/*  mfmaIndex:2  */
_ds_load_b128 v[vgprValuA_X2_I0+8:vgprValuA_X2_I0+8+3], v[vgprLocalReadAddrA] offset:9248 // L -> Reg lro=16 swapByteOffset=0 ti=32 vIdx=2 rIdx=0 oIdx=0 buffer=2 iui=0
/* localReadsVacancy: latencyLeft 9 */
_ds_load_b128 v[vgprValuA_X4_I0+0:vgprValuA_X4_I0+0+3], v[vgprLocalReadAddrA] offset:64 // L -> Reg lro=32 swapByteOffset=0 ti=32 vIdx=0 rIdx=0 oIdx=0 buffer=4 iui=0
_ds_load_b128 v[vgprValuB_X4_I0+0:vgprValuB_X4_I0+0+3], v[vgprLocalReadAddrB] offset:64 // L -> Reg lro=32 swapByteOffset=0 ti=128 vIdx=0 rIdx=0 oIdx=0 buffer=4 iui=0
v_mfma_f32_32x32x8bf16_1k a[32+0:47+0], v[vgprValuB_X0_I0+0+0+0:vgprValuB_X0_I0+0+0+0+1], v[vgprValuA_X0_I0+8+0+0:vgprValuA_X0_I0+8+0+0+1], a[32:47]
/* numPrefetchIter=0 */
/* dataAtIterA=-1 numReadsIterA=1 skipReadsIterA=1 readsPerIterA=3 */
/* dataAtIterB=-1 numReadsIterB=1 skipReadsIterB=1 readsPerIterB=1 */


/* iter 1 (last unrolled loop) */

/*  grEndMfmaIndex:0, lwStartMfmaIndex:20, lwEndMfmaIndex:20  */
/*  numMfmaForLR:2, barrierMfmaIndex:21, LocalWritePerMfma:0.540 */
/*  mfmaIndex:3  */
_ds_load_b128 v[vgprValuA_X4_I0+4:vgprValuA_X4_I0+4+3], v[vgprLocalReadAddrA] offset:4672 // L -> Reg lro=32 swapByteOffset=0 ti=32 vIdx=1 rIdx=0 oIdx=0 buffer=4 iui=0
_ds_load_b128 v[vgprValuA_X4_I0+8:vgprValuA_X4_I0+8+3], v[vgprLocalReadAddrA] offset:9280 // L -> Reg lro=32 swapByteOffset=0 ti=32 vIdx=2 rIdx=0 oIdx=0 buffer=4 iui=0
/* localReadsVacancy: latencyLeft 5 */
_ds_load_b128 v[vgprValuA_X6_I0+0:vgprValuA_X6_I0+0+3], v[vgprLocalReadAddrA] offset:96 // L -> Reg lro=48 swapByteOffset=0 ti=32 vIdx=0 rIdx=0 oIdx=0 buffer=6 iui=0
s_waitcnt lgkmcnt(9)                               // lgkmcnt=0 vmcnt=-1wait for prior local read local write old=2, new=8 newLW=0 newLR=6
v_mfma_f32_32x32x8bf16_1k a[0+0:15+0], v[vgprValuB_X0_I0+0+2+0:vgprValuB_X0_I0+0+2+0+1], v[vgprValuA_X0_I0+0+2+0:vgprValuA_X0_I0+0+2+0+1], a[0:15]
/*  mfmaIndex:4  */
/* localReadsVacancy: latencyLeft 13 */
_ds_load_b128 v[vgprValuB_X6_I0+0:vgprValuB_X6_I0+0+3], v[vgprLocalReadAddrB] offset:96 // L -> Reg lro=48 swapByteOffset=0 ti=128 vIdx=0 rIdx=0 oIdx=0 buffer=6 iui=0
_ds_load_b128 v[vgprValuA_X6_I0+4:vgprValuA_X6_I0+4+3], v[vgprLocalReadAddrA] offset:4704 // L -> Reg lro=48 swapByteOffset=0 ti=32 vIdx=1 rIdx=0 oIdx=0 buffer=6 iui=0
_ds_load_b128 v[vgprValuA_X6_I0+8:vgprValuA_X6_I0+8+3], v[vgprLocalReadAddrA] offset:9312 // L -> Reg lro=48 swapByteOffset=0 ti=32 vIdx=2 rIdx=0 oIdx=0 buffer=6 iui=0
v_mfma_f32_32x32x8bf16_1k a[16+0:31+0], v[vgprValuB_X0_I0+0+2+0:vgprValuB_X0_I0+0+2+0+1], v[vgprValuA_X0_I0+4+2+0:vgprValuA_X0_I0+4+2+0+1], a[16:31]
/*  mfmaIndex:5  */
/* localReadsVacancy: latencyLeft 13 */
v_mfma_f32_32x32x8bf16_1k a[32+0:47+0], v[vgprValuB_X0_I0+0+2+0:vgprValuB_X0_I0+0+2+0+1], v[vgprValuA_X0_I0+8+2+0:vgprValuA_X0_I0+8+2+0+1], a[32:47]
/* numPrefetchIter=0 */
/* dataAtIterA=-1 numReadsIterA=2 skipReadsIterA=2 readsPerIterA=3 */
/* dataAtIterB=-1 numReadsIterB=2 skipReadsIterB=2 readsPerIterB=1 */


/* iter 2 (last unrolled loop) */

/*  grEndMfmaIndex:0, lwStartMfmaIndex:20, lwEndMfmaIndex:20  */
/*  numMfmaForLR:2, barrierMfmaIndex:21, LocalWritePerMfma:0.540 */
/*  mfmaIndex:6  */
/* localReadsVacancy: latencyLeft 13 */
s_waitcnt lgkmcnt(8)                               // lgkmcnt=0 vmcnt=-1wait for prior local read local write old=4, new=8 newLW=0 newLR=4
v_mfma_f32_32x32x8bf16_1k a[0+0:15+0], v[vgprValuB_X2_I0+0+0+0:vgprValuB_X2_I0+0+0+0+1], v[vgprValuA_X2_I0+0+0+0:vgprValuA_X2_I0+0+0+0+1], a[0:15]
/*  mfmaIndex:7  */
/* localReadsVacancy: latencyLeft 13 */
v_mfma_f32_32x32x8bf16_1k a[16+0:31+0], v[vgprValuB_X2_I0+0+0+0:vgprValuB_X2_I0+0+0+0+1], v[vgprValuA_X2_I0+4+0+0:vgprValuA_X2_I0+4+0+0+1], a[16:31]
/*  mfmaIndex:8  */
/* localReadsVacancy: latencyLeft 13 */
v_mfma_f32_32x32x8bf16_1k a[32+0:47+0], v[vgprValuB_X2_I0+0+0+0:vgprValuB_X2_I0+0+0+0+1], v[vgprValuA_X2_I0+8+0+0:vgprValuA_X2_I0+8+0+0+1], a[32:47]
/* numPrefetchIter=0 */
/* dataAtIterA=0 numReadsIterA=3 skipReadsIterA=2 readsPerIterA=3 */
/* dataAtIterB=0 numReadsIterB=3 skipReadsIterB=2 readsPerIterB=1 */


/* iter 3 (last unrolled loop) */

/*  grEndMfmaIndex:0, lwStartMfmaIndex:20, lwEndMfmaIndex:20  */
/*  numMfmaForLR:2, barrierMfmaIndex:21, LocalWritePerMfma:0.540 */
/*  mfmaIndex:9  */
/* localReadsVacancy: latencyLeft 13 */
s_waitcnt lgkmcnt(8)                               // lgkmcnt=0 vmcnt=-1wait for prior local read local write old=0, new=8 newLW=0 newLR=8
v_mfma_f32_32x32x8bf16_1k a[0+0:15+0], v[vgprValuB_X2_I0+0+2+0:vgprValuB_X2_I0+0+2+0+1], v[vgprValuA_X2_I0+0+2+0:vgprValuA_X2_I0+0+2+0+1], a[0:15]
/*  mfmaIndex:10  */
/* localReadsVacancy: latencyLeft 13 */
v_mfma_f32_32x32x8bf16_1k a[16+0:31+0], v[vgprValuB_X2_I0+0+2+0:vgprValuB_X2_I0+0+2+0+1], v[vgprValuA_X2_I0+4+2+0:vgprValuA_X2_I0+4+2+0+1], a[16:31]
/*  mfmaIndex:11  */
/* localReadsVacancy: latencyLeft 13 */
v_mfma_f32_32x32x8bf16_1k a[32+0:47+0], v[vgprValuB_X2_I0+0+2+0:vgprValuB_X2_I0+0+2+0+1], v[vgprValuA_X2_I0+8+2+0:vgprValuA_X2_I0+8+2+0+1], a[32:47]
/* numPrefetchIter=0 */
/* dataAtIterA=0 numReadsIterA=3 skipReadsIterA=2 readsPerIterA=3 */
/* dataAtIterB=0 numReadsIterB=3 skipReadsIterB=2 readsPerIterB=1 */


/* iter 4 (last unrolled loop) */

/*  grEndMfmaIndex:0, lwStartMfmaIndex:20, lwEndMfmaIndex:20  */
/*  numMfmaForLR:2, barrierMfmaIndex:21, LocalWritePerMfma:0.540 */
/*  mfmaIndex:12  */
/* localReadsVacancy: latencyLeft 13 */
s_waitcnt lgkmcnt(4)                               // lgkmcnt=0 vmcnt=-1wait for prior local read local write old=0, new=4 newLW=0 newLR=4
v_mfma_f32_32x32x8bf16_1k a[0+0:15+0], v[vgprValuB_X4_I0+0+0+0:vgprValuB_X4_I0+0+0+0+1], v[vgprValuA_X4_I0+0+0+0:vgprValuA_X4_I0+0+0+0+1], a[0:15]
/*  mfmaIndex:13  */
/* localReadsVacancy: latencyLeft 13 */
v_mfma_f32_32x32x8bf16_1k a[16+0:31+0], v[vgprValuB_X4_I0+0+0+0:vgprValuB_X4_I0+0+0+0+1], v[vgprValuA_X4_I0+4+0+0:vgprValuA_X4_I0+4+0+0+1], a[16:31]
/*  mfmaIndex:14  */
/* localReadsVacancy: latencyLeft 13 */
v_mfma_f32_32x32x8bf16_1k a[32+0:47+0], v[vgprValuB_X4_I0+0+0+0:vgprValuB_X4_I0+0+0+0+1], v[vgprValuA_X4_I0+8+0+0:vgprValuA_X4_I0+8+0+0+1], a[32:47]
/* numPrefetchIter=0 */
/* dataAtIterA=1 numReadsIterA=3 skipReadsIterA=1 readsPerIterA=3 */
/* dataAtIterB=1 numReadsIterB=3 skipReadsIterB=1 readsPerIterB=1 */


/* iter 5 (last unrolled loop) */

/*  grEndMfmaIndex:0, lwStartMfmaIndex:20, lwEndMfmaIndex:20  */
/*  numMfmaForLR:2, barrierMfmaIndex:21, LocalWritePerMfma:0.540 */
/*  mfmaIndex:15  */
/* localReadsVacancy: latencyLeft 13 */
s_waitcnt lgkmcnt(4)                               // lgkmcnt=0 vmcnt=-1wait for prior local read local write old=0, new=4 newLW=0 newLR=4
v_mfma_f32_32x32x8bf16_1k a[0+0:15+0], v[vgprValuB_X4_I0+0+2+0:vgprValuB_X4_I0+0+2+0+1], v[vgprValuA_X4_I0+0+2+0:vgprValuA_X4_I0+0+2+0+1], a[0:15]
/*  mfmaIndex:16  */
/* localReadsVacancy: latencyLeft 13 */
v_mfma_f32_32x32x8bf16_1k a[16+0:31+0], v[vgprValuB_X4_I0+0+2+0:vgprValuB_X4_I0+0+2+0+1], v[vgprValuA_X4_I0+4+2+0:vgprValuA_X4_I0+4+2+0+1], a[16:31]
/*  mfmaIndex:17  */
/* localReadsVacancy: latencyLeft 13 */
v_mfma_f32_32x32x8bf16_1k a[32+0:47+0], v[vgprValuB_X4_I0+0+2+0:vgprValuB_X4_I0+0+2+0+1], v[vgprValuA_X4_I0+8+2+0:vgprValuA_X4_I0+8+2+0+1], a[32:47]
/* numPrefetchIter=0 */
/* dataAtIterA=1 numReadsIterA=3 skipReadsIterA=1 readsPerIterA=3 */
/* dataAtIterB=1 numReadsIterB=3 skipReadsIterB=1 readsPerIterB=1 */


/* iter 6 (last unrolled loop) */

/*  grEndMfmaIndex:0, lwStartMfmaIndex:20, lwEndMfmaIndex:20  */
/*  numMfmaForLR:2, barrierMfmaIndex:21, LocalWritePerMfma:0.540 */
/*  mfmaIndex:18  */
/* localReadsVacancy: latencyLeft 13 */
s_waitcnt lgkmcnt(0)                               // lgkmcnt=0 vmcnt=-1wait for prior local read local write old=0, new=0 newLW=0 newLR=0
v_mfma_f32_32x32x8bf16_1k a[0+0:15+0], v[vgprValuB_X6_I0+0+0+0:vgprValuB_X6_I0+0+0+0+1], v[vgprValuA_X6_I0+0+0+0:vgprValuA_X6_I0+0+0+0+1], a[0:15]
/*  mfmaIndex:19  */
/* localReadsVacancy: latencyLeft 13 */
/* 1 LDS buffer: read-sync-write */
s_waitcnt lgkmcnt(0)                               // 
s_barrier                                          // 
v_mfma_f32_32x32x8bf16_1k a[16+0:31+0], v[vgprValuB_X6_I0+0+0+0:vgprValuB_X6_I0+0+0+0+1], v[vgprValuA_X6_I0+4+0+0:vgprValuA_X6_I0+4+0+0+1], a[16:31]
/*  mfmaIndex:20  */
/* localReadsVacancy: latencyLeft 13 */
v_mfma_f32_32x32x8bf16_1k a[32+0:47+0], v[vgprValuB_X6_I0+0+0+0:vgprValuB_X6_I0+0+0+0+1], v[vgprValuA_X6_I0+8+0+0:vgprValuA_X6_I0+8+0+0+1], a[32:47]
/* numPrefetchIter=0 */
/* dataAtIterA=2 numReadsIterA=3 skipReadsIterA=0 readsPerIterA=3 */
/* dataAtIterB=2 numReadsIterB=3 skipReadsIterB=0 readsPerIterB=1 */


/* iter 7 (last unrolled loop) */

/*  grEndMfmaIndex:0, lwStartMfmaIndex:20, lwEndMfmaIndex:20  */
/*  numMfmaForLR:2, barrierMfmaIndex:21, LocalWritePerMfma:0.540 */
/*  mfmaIndex:21  */
v_mfma_f32_32x32x8bf16_1k a[0+0:15+0], v[vgprValuB_X6_I0+0+2+0:vgprValuB_X6_I0+0+2+0+1], v[vgprValuA_X6_I0+0+2+0:vgprValuA_X6_I0+0+2+0+1], a[0:15]
/*  mfmaIndex:22  */
v_mfma_f32_32x32x8bf16_1k a[16+0:31+0], v[vgprValuB_X6_I0+0+2+0:vgprValuB_X6_I0+0+2+0+1], v[vgprValuA_X6_I0+4+2+0:vgprValuA_X6_I0+4+2+0+1], a[16:31]
	;; [unrolled: 2-line block ×3, first 2 shown]

PrefetchGlobalLastIterEnd_5:


/******************************************/
/* Tail Loop                              */
/******************************************/


/* local write reset offsets a */


	;; [unrolled: 1-line block ×4, first 2 shown]
/* local write reset offsets b */


	;; [unrolled: 1-line block ×4, first 2 shown]
//numIterL = (((sizeL % LOCAL_DEPTHU) + LOCAL_SPLITU - 1) / LOCAL_SPLITU)
s_and_b32 s[sgprLoopCounterL], 63, s[sgprSizesSum+0] // s[sgprLoopCounterL] = s[sgprSizesSum+0] % 64
s_cmp_eq_u32 s[sgprLoopCounterL], 0x0              // numIterL == 0
s_cbranch_scc1 SkipTailLoopL_8                     // skip to end of tail loop b/c numIter==0
s_mov_b32 s[sgprOrigLoopCounter], 0                // repurpose to count each localRead increment


/* Update M0 for DTLDS */


	;; [unrolled: 1-line block ×3, first 2 shown]
/* global read a */

/* g2l=0, load component 0 */
_buffer_load_d16_b16 v[vgprG2LA+0+0], v[vgprGlobalReadOffsetA+0], s[sgprSrdA:sgprSrdA+3], 0, offen offset:0 // load one buffer value
/* g2l=0, load component 1 */
_buffer_load_d16_hi_b16 v99, v[vgprGlobalReadOffsetA+0], s[sgprSrdA:sgprSrdA+3], 0, offen offset:2 // load one buffer value
s_waitcnt vmcnt(0)
v_or_b32 v[vgprG2LA+0+0], v[vgprG2LA+0+0], v99 // HasEccHalf: pack
/* g2l=0, load component 2 */
_buffer_load_d16_b16 v[vgprG2LA+0+1], v[vgprGlobalReadOffsetA+0], s[sgprSrdA:sgprSrdA+3], 0, offen offset:4 // load one buffer value
/* g2l=0, load component 3 */
_buffer_load_d16_hi_b16 v99, v[vgprGlobalReadOffsetA+0], s[sgprSrdA:sgprSrdA+3], 0, offen offset:6 // load one buffer value
s_waitcnt vmcnt(0)
v_or_b32 v[vgprG2LA+0+1], v[vgprG2LA+0+1], v99 // HasEccHalf: pack
	;; [unrolled: 6-line block ×4, first 2 shown]
/* g2l=4, load component 0 */
_buffer_load_d16_b16 v[vgprG2LA+4+0], v[vgprGlobalReadOffsetA+0], s[sgprSrdA:sgprSrdA+3], s[sgprScalarGlobalReadOffsetA+0], offen offset:0 // load one buffer value
/* g2l=4, load component 1 */
_buffer_load_d16_hi_b16 v99, v[vgprGlobalReadOffsetA+0], s[sgprSrdA:sgprSrdA+3], s[sgprScalarGlobalReadOffsetA+0], offen offset:2 // load one buffer value
s_waitcnt vmcnt(0)
v_or_b32 v[vgprG2LA+4+0], v[vgprG2LA+4+0], v99 // HasEccHalf: pack
/* g2l=4, load component 2 */
_buffer_load_d16_b16 v[vgprG2LA+4+1], v[vgprGlobalReadOffsetA+0], s[sgprSrdA:sgprSrdA+3], s[sgprScalarGlobalReadOffsetA+0], offen offset:4 // load one buffer value
/* g2l=4, load component 3 */
_buffer_load_d16_hi_b16 v99, v[vgprGlobalReadOffsetA+0], s[sgprSrdA:sgprSrdA+3], s[sgprScalarGlobalReadOffsetA+0], offen offset:6 // load one buffer value
s_waitcnt vmcnt(0)
v_or_b32 v[vgprG2LA+4+1], v[vgprG2LA+4+1], v99 // HasEccHalf: pack
	;; [unrolled: 6-line block ×8, first 2 shown]


/* Update M0 for DTLDS */


	;; [unrolled: 1-line block ×3, first 2 shown]
/* global read b */

/* g2l=0, load component 0 */
_buffer_load_d16_b16 v[vgprG2LB+0+0], v[vgprGlobalReadOffsetB+0], s[sgprSrdB:sgprSrdB+3], 0, offen offset:0 // load one buffer value
/* g2l=0, load component 1 */
_buffer_load_d16_hi_b16 v99, v[vgprGlobalReadOffsetB+0], s[sgprSrdB:sgprSrdB+3], 0, offen offset:2 // load one buffer value
s_waitcnt vmcnt(0)
v_or_b32 v[vgprG2LB+0+0], v[vgprG2LB+0+0], v99 // HasEccHalf: pack
/* g2l=0, load component 2 */
_buffer_load_d16_b16 v[vgprG2LB+0+1], v[vgprGlobalReadOffsetB+0], s[sgprSrdB:sgprSrdB+3], 0, offen offset:4 // load one buffer value
/* g2l=0, load component 3 */
_buffer_load_d16_hi_b16 v99, v[vgprGlobalReadOffsetB+0], s[sgprSrdB:sgprSrdB+3], 0, offen offset:6 // load one buffer value
s_waitcnt vmcnt(0)
v_or_b32 v[vgprG2LB+0+1], v[vgprG2LB+0+1], v99 // HasEccHalf: pack
	;; [unrolled: 6-line block ×4, first 2 shown]
/* g2l=4, load component 0 */
_buffer_load_d16_b16 v[vgprG2LB+4+0], v[vgprGlobalReadOffsetB+0], s[sgprSrdB:sgprSrdB+3], s[sgprScalarGlobalReadOffsetB+0], offen offset:0 // load one buffer value
/* g2l=4, load component 1 */
_buffer_load_d16_hi_b16 v99, v[vgprGlobalReadOffsetB+0], s[sgprSrdB:sgprSrdB+3], s[sgprScalarGlobalReadOffsetB+0], offen offset:2 // load one buffer value
s_waitcnt vmcnt(0)
v_or_b32 v[vgprG2LB+4+0], v[vgprG2LB+4+0], v99 // HasEccHalf: pack
/* g2l=4, load component 2 */
_buffer_load_d16_b16 v[vgprG2LB+4+1], v[vgprGlobalReadOffsetB+0], s[sgprSrdB:sgprSrdB+3], s[sgprScalarGlobalReadOffsetB+0], offen offset:4 // load one buffer value
/* g2l=4, load component 3 */
_buffer_load_d16_hi_b16 v99, v[vgprGlobalReadOffsetB+0], s[sgprSrdB:sgprSrdB+3], s[sgprScalarGlobalReadOffsetB+0], offen offset:6 // load one buffer value
s_waitcnt vmcnt(0)
v_or_b32 v[vgprG2LB+4+1], v[vgprG2LB+4+1], v99 // HasEccHalf: pack
	;; [unrolled: 6-line block ×12, first 2 shown]

s_waitcnt vmcnt(0)                                 // lgkmcnt=-1 vmcnt=02wait for global read

// Skip force waitcnt0
s_barrier //


/* Done global A/B reads */


	;; [unrolled: 1-line block ×4, first 2 shown]
/* local write a */

_ds_store_b128 v[vgprLocalWriteAddrA], v[vgprG2LA+0:vgprG2LA+0+3] offset:0 // lwoA_0_0_0_0 = (0*LSCA)*(MT0I+PAD) + (0*LSPA) = 0
_ds_store_b128 v[vgprLocalWriteAddrA], v[vgprG2LA+4:vgprG2LA+4+3] offset:1152 // lwoA_0_0_1_0 = (0*LSCA)*(MT0I+PAD) + (1*LSPA) = 1152
_ds_store_b128 v[vgprLocalWriteAddrA], v[vgprG2LA+8:vgprG2LA+8+3] offset:2304 // lwoA_0_0_2_0 = (0*LSCA)*(MT0I+PAD) + (2*LSPA) = 2304


/* local write b */

_ds_store_b128 v[vgprLocalWriteAddrB], v[vgprG2LB+0:vgprG2LB+0+3] offset:0 // lwoB_0_0_0_0 = (0*LSCB)*(MT1J+PAD) + (0*LSPB) = 0
_ds_store_b128 v[vgprLocalWriteAddrB], v[vgprG2LB+4:vgprG2LB+4+3] offset:4608 // lwoB_0_0_1_0 = (0*LSCB)*(MT1J+PAD) + (1*LSPB) = 4608
_ds_store_b128 v[vgprLocalWriteAddrB], v[vgprG2LB+8:vgprG2LB+8+3] offset:9216 // lwoB_0_0_2_0 = (0*LSCB)*(MT1J+PAD) + (2*LSPB) = 9216
_ds_store_b128 v[vgprLocalWriteAddrB], v[vgprG2LB+12:vgprG2LB+12+3] offset:13824 // lwoB_0_0_3_0 = (0*LSCB)*(MT1J+PAD) + (3*LSPB) = 13824


/* Recalc local read offsets */

/*lr0I*/
v_and_b32 v100, 63, v[vgprSerial]                  // 0. thread id in wave: wtid = tid % wavelength(64)
v_and_b32 v99, 31, v100                            // 1. N offset: nIdx = wtid % MI_N(32)
v_lshlrev_b32 v99, 0x6, v99                        // 1. N offset: nOffset = nIdx * nStride(64)
                                                   // 2. block offset: bnIdx = bnIdx % num1DBlocks(1) is 0. do nothing
                                                   // 4. apply VectorWidth: bnOffset = bnOffset * vw(1) (multiplier is 1, do nothing)
v_lshrrev_b32 v100, 5, v100                        // 5. K offset: kIdx = wtid / (MIN(32) * MIBB(1))
v_lshlrev_b32 v100, 0x2, v100                      // 5. K offset: lrKOffset = kIdx * mStride(4)
_v_add_u32 v99, v100, v99                          // 6. offset in wave: lrOffset = bnOffset + lrKOffset
/*lr1J*/
v_and_b32 v101, 63, v[vgprSerial]                  // 0. thread id in wave: wtid = tid % wavelength(64)
v_and_b32 v100, 31, v101                           // 1. N offset: nIdx = wtid % MI_N(32)
v_lshlrev_b32 v100, 0x6, v100                      // 1. N offset: nOffset = nIdx * nStride(64)
                                                   // 2. block offset: bnIdx = bnIdx % num1DBlocks(1) is 0. do nothing
                                                   // 4. apply VectorWidth: bnOffset = bnOffset * vw(1) (multiplier is 1, do nothing)
v_lshrrev_b32 v101, 5, v101                        // 5. K offset: kIdx = wtid / (MIN(32) * MIBB(1))
v_lshlrev_b32 v101, 0x2, v101                      // 5. K offset: lrKOffset = kIdx * mStride(4)
_v_add_u32 v100, v101, v100                        // 6. offset in wave: lrOffset = bnOffset + lrKOffset
v_lshrrev_b32 v102, 6, v[vgprSerial]               // 7. wave offset in N dimen: wtid = tid / dividedForWaveId(64)
v_and_b32 v101, 3, v102                            // 7. wave offset in M dimen: wtid0 = wtid / num1DWaves(4)
v_lshlrev_b32 v101, 0xb, v101                      // 7. wave offset in M dimen: wOffset = wtid0 * W0Stride(2048)
_v_add_u32 v100, v101, v100                        // 8. final local read offset: flrOffset = lrOffset + WOffset
v_lshlrev_b32 v[vgprLocalReadAddrA], 0x1, v99      // Final Offset: offset = (lro0)*bpe
v_lshrrev_b32 v99, 7, v[vgprLocalReadAddrA]        // Final Offset: padding 8 per block 128
v_lshlrev_b32 v99, 0x4, v99                        // Final Offset: padding 8 per block 128
_v_add_u32 v[vgprLocalReadAddrA], v99, v[vgprLocalReadAddrA] // Final Offset: add padding 8 per block 128
/* N/A */
v_lshlrev_b32 v[vgprLocalReadAddrB], 0x1, v100     // Final Offset: offset = (lro1)*bpe
v_lshrrev_b32 v99, 7, v[vgprLocalReadAddrB]        // Final Offset: padding 8 per block 128
v_lshlrev_b32 v99, 0x4, v99                        // Final Offset: padding 8 per block 128
_v_add_u32 v[vgprLocalReadAddrB], v99, v[vgprLocalReadAddrB] // Final Offset: add padding 8 per block 128
_v_add_co_u32 v[vgprLocalReadAddrB+0], vcc, 0x3600, v[vgprLocalReadAddrB+0] //  += LdsOffsetB (lower)

s_waitcnt lgkmcnt(0)                               // lgkmcnt=0 vmcnt=-15wait for local write

// Skip force waitcnt0
s_barrier //


/* local read reset offsets a */


	;; [unrolled: 1-line block ×3, first 2 shown]
/* local read reset offsets b */


	;; [unrolled: 1-line block ×3, first 2 shown]
/* local read init pointers a */


/* localReadInitPointers */


/* local read init pointers b */


/* localReadInitPointers */


/* tail loop: macs */

TailLoopBeginL_6:


/* tail loop unroll iter 0 */


/* local read a */

_ds_load_b64 v[vgprValuA_X0_I0+0:vgprValuA_X0_I0+0+1], v[vgprLocalReadAddrA] offset:0 // L -> Reg lro=0 swapByteOffset=0 ti=32 vIdx=0 rIdx=0 oIdx=0 buffer=0 iui=0
_ds_load_b64 v[vgprValuA_X0_I0+2:vgprValuA_X0_I0+2+1], v[vgprLocalReadAddrA] offset:4608 // L -> Reg lro=0 swapByteOffset=0 ti=32 vIdx=1 rIdx=0 oIdx=0 buffer=0 iui=0
	;; [unrolled: 1-line block ×3, first 2 shown]


/* local read b */

_ds_load_b64 v[vgprValuB_X0_I0+0:vgprValuB_X0_I0+0+1], v[vgprLocalReadAddrB] offset:0 // L -> Reg lro=0 swapByteOffset=0 ti=128 vIdx=0 rIdx=0 oIdx=0 buffer=0 iui=0


/* local read inc a */

s_mov_b32 s55, 0x10                                // inc
_v_add_co_u32 v[vgprLocalReadAddrA], vcc, s55, v[vgprLocalReadAddrA] // lrA += 16 (LSU*bpe)


/* local read inc b */

s_mov_b32 s55, 0x10                                // inc
_v_add_co_u32 v[vgprLocalReadAddrB], vcc, s55, v[vgprLocalReadAddrB] // lrB += 16 (LSU*bpe)

s_waitcnt lgkmcnt(0)                               // lgkmcnt=0 vmcnt=-14wait for local read


	;; [unrolled: 1-line block ×3, first 2 shown]
/* tail loop mfma iter 0: numReadsIterCoalescedA=1, numReadsIterCoalescedB=1 */
v_and_b32 v99, 63, v[vgprSerial]                   // v99 = v[vgprSerial] % 64
v_lshrrev_b32 v99, 5, v99                          // v99 = v99 / 32
v_lshlrev_b32 v99, 0x2, v99                        // v99 = v99 * 4
v_cmp_ge_i32 s[56:57], v99, s[sgprLoopCounterL]    // check K index >= Size L
v_cndmask_b32 v[vgprValuA_X0_I0+0+0+0+0], v[vgprValuA_X0_I0+0+0+0+0], 0x0, s[56:57] // set 0 if K_idx >= sizeL
v_cndmask_b32 v[vgprValuA_X0_I0+2+0+0+0], v[vgprValuA_X0_I0+2+0+0+0], 0x0, s[56:57] // set 0 if K_idx >= sizeL
	;; [unrolled: 1-line block ×3, first 2 shown]
v_cndmask_b32 v[vgprValuB_X0_I0+0+0+0+0], v[vgprValuB_X0_I0+0+0+0+0], 0x0, s[56:57] // set 0 if K_idx >= sizeL
v_cndmask_b32 v[vgprValuA_X0_I0+0+0+0+1], v[vgprValuA_X0_I0+0+0+0+1], 0x0, s[56:57] // set 0 if K_idx >= sizeL
v_cndmask_b32 v[vgprValuA_X0_I0+2+0+0+1], v[vgprValuA_X0_I0+2+0+0+1], 0x0, s[56:57] // set 0 if K_idx >= sizeL
	;; [unrolled: 1-line block ×3, first 2 shown]
v_cndmask_b32 v[vgprValuB_X0_I0+0+0+0+1], v[vgprValuB_X0_I0+0+0+0+1], 0x0, s[56:57] // set 0 if K_idx >= sizeL
_v_sub_u32 v99, s[sgprLoopCounterL], v99           // get distance between size and k index
v_cmp_lt_i32 s[56:57], v99, 4                      // set partial 0 if distance less than input per thread
s_and_b32 s58, s[sgprLoopCounterL], 3              // get inputs for edge thread
s_sub_u32 s58, 4, s58                              // use shift to fill 0 for outside element
s_lshl_b32 s58, s58, 4                             // use shift to fill 0 for outside element
v_mov_b32 v100, -1                                 // set 0xffffffff
v_mov_b32 v101, -1                                 // set 0xffffffff
v_lshrrev_b64 v[100:101], s58, v[100:101]          // rshift mask for partial k
v_cndmask_b32 v100, -1, v100, s[56:57]             // select shifted mask for partial k
v_cndmask_b32 v101, -1, v101, s[56:57]             // select shifted mask for partial k
v_and_b32 v[vgprValuA_X0_I0+0+0+0+0], v[vgprValuA_X0_I0+0+0+0+0], v100 // 
v_and_b32 v[vgprValuA_X0_I0+0+0+0+1], v[vgprValuA_X0_I0+0+0+0+1], v101 // 
	;; [unrolled: 1-line block ×6, first 2 shown]
v_and_b32 v[vgprValuB_X0_I0+0+0+0+0], v[vgprValuB_X0_I0+0+0+0+0], v100 // 
v_and_b32 v[vgprValuB_X0_I0+0+0+0+1], v[vgprValuB_X0_I0+0+0+0+1], v101 // 
s_nop 1
v_mfma_f32_32x32x8bf16_1k a[0+0:15+0], v[vgprValuB_X0_I0+0+0+0:vgprValuB_X0_I0+0+0+0+1], v[vgprValuA_X0_I0+0+0+0:vgprValuA_X0_I0+0+0+0+1], a[0:15]
v_mfma_f32_32x32x8bf16_1k a[16+0:31+0], v[vgprValuB_X0_I0+0+0+0:vgprValuB_X0_I0+0+0+0+1], v[vgprValuA_X0_I0+2+0+0:vgprValuA_X0_I0+2+0+0+1], a[16:31]
	;; [unrolled: 1-line block ×3, first 2 shown]


/* closeLoop loopL finalLoop=0 tailLoop=1 */
s_sub_i32 s[sgprLoopCounterL], s[sgprLoopCounterL], 0x8 // dec counterL (tailLoop)
s_add_u32 s[sgprOrigLoopCounter], s[sgprOrigLoopCounter], 0x8 // inc counterL
s_cmp_le_i32 s[sgprLoopCounterL], 0x0              // counterL<=0
s_cbranch_scc1 TailLoopEndL_7                      // exit LoopL


/* tail loop unroll iter 1 */


/* local read a */

_ds_load_b64 v[vgprValuA_X1_I0+0:vgprValuA_X1_I0+0+1], v[vgprLocalReadAddrA] offset:0 // L -> Reg lro=0 swapByteOffset=0 ti=32 vIdx=0 rIdx=0 oIdx=0 buffer=1 iui=0
_ds_load_b64 v[vgprValuA_X1_I0+2:vgprValuA_X1_I0+2+1], v[vgprLocalReadAddrA] offset:4608 // L -> Reg lro=0 swapByteOffset=0 ti=32 vIdx=1 rIdx=0 oIdx=0 buffer=1 iui=0
	;; [unrolled: 1-line block ×3, first 2 shown]


/* local read b */

_ds_load_b64 v[vgprValuB_X1_I0+0:vgprValuB_X1_I0+0+1], v[vgprLocalReadAddrB] offset:0 // L -> Reg lro=0 swapByteOffset=0 ti=128 vIdx=0 rIdx=0 oIdx=0 buffer=1 iui=0


/* local read inc a */

s_mov_b32 s55, 0x10                                // inc
_v_add_co_u32 v[vgprLocalReadAddrA], vcc, s55, v[vgprLocalReadAddrA] // lrA += 16 (LSU*bpe)


/* local read inc b */

s_mov_b32 s55, 0x10                                // inc
_v_add_co_u32 v[vgprLocalReadAddrB], vcc, s55, v[vgprLocalReadAddrB] // lrB += 16 (LSU*bpe)

s_waitcnt lgkmcnt(0)                               // lgkmcnt=0 vmcnt=-14wait for local read



/* tail loop mfma iter 1: numReadsIterCoalescedA=1, numReadsIterCoalescedB=1 */
v_and_b32 v99, 63, v[vgprSerial]                   // v99 = v[vgprSerial] % 64
v_lshrrev_b32 v99, 5, v99                          // v99 = v99 / 32
v_lshlrev_b32 v99, 0x2, v99                        // v99 = v99 * 4
v_cmp_ge_i32 s[56:57], v99, s[sgprLoopCounterL]    // check K index >= Size L
v_cndmask_b32 v[vgprValuA_X1_I0+0+0+0+0], v[vgprValuA_X1_I0+0+0+0+0], 0x0, s[56:57] // set 0 if K_idx >= sizeL
v_cndmask_b32 v[vgprValuA_X1_I0+2+0+0+0], v[vgprValuA_X1_I0+2+0+0+0], 0x0, s[56:57] // set 0 if K_idx >= sizeL
	;; [unrolled: 1-line block ×3, first 2 shown]
v_cndmask_b32 v[vgprValuB_X1_I0+0+0+0+0], v[vgprValuB_X1_I0+0+0+0+0], 0x0, s[56:57] // set 0 if K_idx >= sizeL
v_cndmask_b32 v[vgprValuA_X1_I0+0+0+0+1], v[vgprValuA_X1_I0+0+0+0+1], 0x0, s[56:57] // set 0 if K_idx >= sizeL
v_cndmask_b32 v[vgprValuA_X1_I0+2+0+0+1], v[vgprValuA_X1_I0+2+0+0+1], 0x0, s[56:57] // set 0 if K_idx >= sizeL
	;; [unrolled: 1-line block ×3, first 2 shown]
v_cndmask_b32 v[vgprValuB_X1_I0+0+0+0+1], v[vgprValuB_X1_I0+0+0+0+1], 0x0, s[56:57] // set 0 if K_idx >= sizeL
_v_sub_u32 v99, s[sgprLoopCounterL], v99           // get distance between size and k index
v_cmp_lt_i32 s[56:57], v99, 4                      // set partial 0 if distance less than input per thread
s_and_b32 s58, s[sgprLoopCounterL], 3              // get inputs for edge thread
s_sub_u32 s58, 4, s58                              // use shift to fill 0 for outside element
s_lshl_b32 s58, s58, 4                             // use shift to fill 0 for outside element
v_mov_b32 v100, -1                                 // set 0xffffffff
v_mov_b32 v101, -1                                 // set 0xffffffff
v_lshrrev_b64 v[100:101], s58, v[100:101]          // rshift mask for partial k
v_cndmask_b32 v100, -1, v100, s[56:57]             // select shifted mask for partial k
v_cndmask_b32 v101, -1, v101, s[56:57]             // select shifted mask for partial k
v_and_b32 v[vgprValuA_X1_I0+0+0+0+0], v[vgprValuA_X1_I0+0+0+0+0], v100 // 
v_and_b32 v[vgprValuA_X1_I0+0+0+0+1], v[vgprValuA_X1_I0+0+0+0+1], v101 // 
	;; [unrolled: 1-line block ×6, first 2 shown]
v_and_b32 v[vgprValuB_X1_I0+0+0+0+0], v[vgprValuB_X1_I0+0+0+0+0], v100 // 
v_and_b32 v[vgprValuB_X1_I0+0+0+0+1], v[vgprValuB_X1_I0+0+0+0+1], v101 // 
s_nop 1
v_mfma_f32_32x32x8bf16_1k a[0+0:15+0], v[vgprValuB_X1_I0+0+0+0:vgprValuB_X1_I0+0+0+0+1], v[vgprValuA_X1_I0+0+0+0:vgprValuA_X1_I0+0+0+0+1], a[0:15]
v_mfma_f32_32x32x8bf16_1k a[16+0:31+0], v[vgprValuB_X1_I0+0+0+0:vgprValuB_X1_I0+0+0+0+1], v[vgprValuA_X1_I0+2+0+0:vgprValuA_X1_I0+2+0+0+1], a[16:31]
v_mfma_f32_32x32x8bf16_1k a[32+0:47+0], v[vgprValuB_X1_I0+0+0+0:vgprValuB_X1_I0+0+0+0+1], v[vgprValuA_X1_I0+4+0+0:vgprValuA_X1_I0+4+0+0+1], a[32:47]


/* closeLoop loopL finalLoop=0 tailLoop=1 */
s_sub_i32 s[sgprLoopCounterL], s[sgprLoopCounterL], 0x8 // dec counterL (tailLoop)
s_add_u32 s[sgprOrigLoopCounter], s[sgprOrigLoopCounter], 0x8 // inc counterL
s_cmp_le_i32 s[sgprLoopCounterL], 0x0              // counterL<=0
s_cbranch_scc1 TailLoopEndL_7                      // exit LoopL


/* tail loop unroll iter 2 */


/* local read a */

_ds_load_b64 v[vgprValuA_X2_I0+0:vgprValuA_X2_I0+0+1], v[vgprLocalReadAddrA] offset:0 // L -> Reg lro=0 swapByteOffset=0 ti=32 vIdx=0 rIdx=0 oIdx=0 buffer=2 iui=0
_ds_load_b64 v[vgprValuA_X2_I0+2:vgprValuA_X2_I0+2+1], v[vgprLocalReadAddrA] offset:4608 // L -> Reg lro=0 swapByteOffset=0 ti=32 vIdx=1 rIdx=0 oIdx=0 buffer=2 iui=0
	;; [unrolled: 1-line block ×3, first 2 shown]


/* local read b */

_ds_load_b64 v[vgprValuB_X2_I0+0:vgprValuB_X2_I0+0+1], v[vgprLocalReadAddrB] offset:0 // L -> Reg lro=0 swapByteOffset=0 ti=128 vIdx=0 rIdx=0 oIdx=0 buffer=2 iui=0


/* local read inc a */

s_mov_b32 s55, 0x10                                // inc
_v_add_co_u32 v[vgprLocalReadAddrA], vcc, s55, v[vgprLocalReadAddrA] // lrA += 16 (LSU*bpe)


/* local read inc b */

s_mov_b32 s55, 0x10                                // inc
_v_add_co_u32 v[vgprLocalReadAddrB], vcc, s55, v[vgprLocalReadAddrB] // lrB += 16 (LSU*bpe)

s_waitcnt lgkmcnt(0)                               // lgkmcnt=0 vmcnt=-14wait for local read


	;; [unrolled: 1-line block ×3, first 2 shown]
/* tail loop mfma iter 2: numReadsIterCoalescedA=1, numReadsIterCoalescedB=1 */
v_and_b32 v99, 63, v[vgprSerial]                   // v99 = v[vgprSerial] % 64
v_lshrrev_b32 v99, 5, v99                          // v99 = v99 / 32
v_lshlrev_b32 v99, 0x2, v99                        // v99 = v99 * 4
v_cmp_ge_i32 s[56:57], v99, s[sgprLoopCounterL]    // check K index >= Size L
v_cndmask_b32 v[vgprValuA_X2_I0+0+0+0+0], v[vgprValuA_X2_I0+0+0+0+0], 0x0, s[56:57] // set 0 if K_idx >= sizeL
v_cndmask_b32 v[vgprValuA_X2_I0+2+0+0+0], v[vgprValuA_X2_I0+2+0+0+0], 0x0, s[56:57] // set 0 if K_idx >= sizeL
	;; [unrolled: 1-line block ×3, first 2 shown]
v_cndmask_b32 v[vgprValuB_X2_I0+0+0+0+0], v[vgprValuB_X2_I0+0+0+0+0], 0x0, s[56:57] // set 0 if K_idx >= sizeL
v_cndmask_b32 v[vgprValuA_X2_I0+0+0+0+1], v[vgprValuA_X2_I0+0+0+0+1], 0x0, s[56:57] // set 0 if K_idx >= sizeL
v_cndmask_b32 v[vgprValuA_X2_I0+2+0+0+1], v[vgprValuA_X2_I0+2+0+0+1], 0x0, s[56:57] // set 0 if K_idx >= sizeL
v_cndmask_b32 v[vgprValuA_X2_I0+4+0+0+1], v[vgprValuA_X2_I0+4+0+0+1], 0x0, s[56:57] // set 0 if K_idx >= sizeL
v_cndmask_b32 v[vgprValuB_X2_I0+0+0+0+1], v[vgprValuB_X2_I0+0+0+0+1], 0x0, s[56:57] // set 0 if K_idx >= sizeL
_v_sub_u32 v99, s[sgprLoopCounterL], v99           // get distance between size and k index
v_cmp_lt_i32 s[56:57], v99, 4                      // set partial 0 if distance less than input per thread
s_and_b32 s58, s[sgprLoopCounterL], 3              // get inputs for edge thread
s_sub_u32 s58, 4, s58                              // use shift to fill 0 for outside element
s_lshl_b32 s58, s58, 4                             // use shift to fill 0 for outside element
v_mov_b32 v100, -1                                 // set 0xffffffff
v_mov_b32 v101, -1                                 // set 0xffffffff
v_lshrrev_b64 v[100:101], s58, v[100:101]          // rshift mask for partial k
v_cndmask_b32 v100, -1, v100, s[56:57]             // select shifted mask for partial k
v_cndmask_b32 v101, -1, v101, s[56:57]             // select shifted mask for partial k
v_and_b32 v[vgprValuA_X2_I0+0+0+0+0], v[vgprValuA_X2_I0+0+0+0+0], v100 // 
v_and_b32 v[vgprValuA_X2_I0+0+0+0+1], v[vgprValuA_X2_I0+0+0+0+1], v101 // 
	;; [unrolled: 1-line block ×6, first 2 shown]
v_and_b32 v[vgprValuB_X2_I0+0+0+0+0], v[vgprValuB_X2_I0+0+0+0+0], v100 // 
v_and_b32 v[vgprValuB_X2_I0+0+0+0+1], v[vgprValuB_X2_I0+0+0+0+1], v101 // 
s_nop 1
v_mfma_f32_32x32x8bf16_1k a[0+0:15+0], v[vgprValuB_X2_I0+0+0+0:vgprValuB_X2_I0+0+0+0+1], v[vgprValuA_X2_I0+0+0+0:vgprValuA_X2_I0+0+0+0+1], a[0:15]
v_mfma_f32_32x32x8bf16_1k a[16+0:31+0], v[vgprValuB_X2_I0+0+0+0:vgprValuB_X2_I0+0+0+0+1], v[vgprValuA_X2_I0+2+0+0:vgprValuA_X2_I0+2+0+0+1], a[16:31]
	;; [unrolled: 1-line block ×3, first 2 shown]


/* closeLoop loopL finalLoop=0 tailLoop=1 */
s_sub_i32 s[sgprLoopCounterL], s[sgprLoopCounterL], 0x8 // dec counterL (tailLoop)
s_add_u32 s[sgprOrigLoopCounter], s[sgprOrigLoopCounter], 0x8 // inc counterL
s_cmp_le_i32 s[sgprLoopCounterL], 0x0              // counterL<=0
s_cbranch_scc1 TailLoopEndL_7                      // exit LoopL


/* tail loop unroll iter 3 */


/* local read a */

_ds_load_b64 v[vgprValuA_X3_I0+0:vgprValuA_X3_I0+0+1], v[vgprLocalReadAddrA] offset:0 // L -> Reg lro=0 swapByteOffset=0 ti=32 vIdx=0 rIdx=0 oIdx=0 buffer=3 iui=0
_ds_load_b64 v[vgprValuA_X3_I0+2:vgprValuA_X3_I0+2+1], v[vgprLocalReadAddrA] offset:4608 // L -> Reg lro=0 swapByteOffset=0 ti=32 vIdx=1 rIdx=0 oIdx=0 buffer=3 iui=0
	;; [unrolled: 1-line block ×3, first 2 shown]


/* local read b */

_ds_load_b64 v[vgprValuB_X3_I0+0:vgprValuB_X3_I0+0+1], v[vgprLocalReadAddrB] offset:0 // L -> Reg lro=0 swapByteOffset=0 ti=128 vIdx=0 rIdx=0 oIdx=0 buffer=3 iui=0


/* local read inc a */

s_mov_b32 s55, 0x10                                // inc
_v_add_co_u32 v[vgprLocalReadAddrA], vcc, s55, v[vgprLocalReadAddrA] // lrA += 16 (LSU*bpe)


/* local read inc b */

s_mov_b32 s55, 0x10                                // inc
_v_add_co_u32 v[vgprLocalReadAddrB], vcc, s55, v[vgprLocalReadAddrB] // lrB += 16 (LSU*bpe)

s_waitcnt lgkmcnt(0)                               // lgkmcnt=0 vmcnt=-14wait for local read


	;; [unrolled: 1-line block ×3, first 2 shown]
/* tail loop mfma iter 3: numReadsIterCoalescedA=1, numReadsIterCoalescedB=1 */
v_and_b32 v99, 63, v[vgprSerial]                   // v99 = v[vgprSerial] % 64
v_lshrrev_b32 v99, 5, v99                          // v99 = v99 / 32
v_lshlrev_b32 v99, 0x2, v99                        // v99 = v99 * 4
v_cmp_ge_i32 s[56:57], v99, s[sgprLoopCounterL]    // check K index >= Size L
v_cndmask_b32 v[vgprValuA_X3_I0+0+0+0+0], v[vgprValuA_X3_I0+0+0+0+0], 0x0, s[56:57] // set 0 if K_idx >= sizeL
v_cndmask_b32 v[vgprValuA_X3_I0+2+0+0+0], v[vgprValuA_X3_I0+2+0+0+0], 0x0, s[56:57] // set 0 if K_idx >= sizeL
	;; [unrolled: 1-line block ×3, first 2 shown]
v_cndmask_b32 v[vgprValuB_X3_I0+0+0+0+0], v[vgprValuB_X3_I0+0+0+0+0], 0x0, s[56:57] // set 0 if K_idx >= sizeL
v_cndmask_b32 v[vgprValuA_X3_I0+0+0+0+1], v[vgprValuA_X3_I0+0+0+0+1], 0x0, s[56:57] // set 0 if K_idx >= sizeL
v_cndmask_b32 v[vgprValuA_X3_I0+2+0+0+1], v[vgprValuA_X3_I0+2+0+0+1], 0x0, s[56:57] // set 0 if K_idx >= sizeL
	;; [unrolled: 1-line block ×3, first 2 shown]
v_cndmask_b32 v[vgprValuB_X3_I0+0+0+0+1], v[vgprValuB_X3_I0+0+0+0+1], 0x0, s[56:57] // set 0 if K_idx >= sizeL
_v_sub_u32 v99, s[sgprLoopCounterL], v99           // get distance between size and k index
v_cmp_lt_i32 s[56:57], v99, 4                      // set partial 0 if distance less than input per thread
s_and_b32 s58, s[sgprLoopCounterL], 3              // get inputs for edge thread
s_sub_u32 s58, 4, s58                              // use shift to fill 0 for outside element
s_lshl_b32 s58, s58, 4                             // use shift to fill 0 for outside element
v_mov_b32 v100, -1                                 // set 0xffffffff
v_mov_b32 v101, -1                                 // set 0xffffffff
v_lshrrev_b64 v[100:101], s58, v[100:101]          // rshift mask for partial k
v_cndmask_b32 v100, -1, v100, s[56:57]             // select shifted mask for partial k
v_cndmask_b32 v101, -1, v101, s[56:57]             // select shifted mask for partial k
v_and_b32 v[vgprValuA_X3_I0+0+0+0+0], v[vgprValuA_X3_I0+0+0+0+0], v100 // 
v_and_b32 v[vgprValuA_X3_I0+0+0+0+1], v[vgprValuA_X3_I0+0+0+0+1], v101 // 
	;; [unrolled: 1-line block ×6, first 2 shown]
v_and_b32 v[vgprValuB_X3_I0+0+0+0+0], v[vgprValuB_X3_I0+0+0+0+0], v100 // 
v_and_b32 v[vgprValuB_X3_I0+0+0+0+1], v[vgprValuB_X3_I0+0+0+0+1], v101 // 
s_nop 1
v_mfma_f32_32x32x8bf16_1k a[0+0:15+0], v[vgprValuB_X3_I0+0+0+0:vgprValuB_X3_I0+0+0+0+1], v[vgprValuA_X3_I0+0+0+0:vgprValuA_X3_I0+0+0+0+1], a[0:15]
v_mfma_f32_32x32x8bf16_1k a[16+0:31+0], v[vgprValuB_X3_I0+0+0+0:vgprValuB_X3_I0+0+0+0+1], v[vgprValuA_X3_I0+2+0+0:vgprValuA_X3_I0+2+0+0+1], a[16:31]
	;; [unrolled: 1-line block ×3, first 2 shown]


/* closeLoop loopL finalLoop=0 tailLoop=1 */
s_sub_i32 s[sgprLoopCounterL], s[sgprLoopCounterL], 0x8 // dec counterL (tailLoop)
s_add_u32 s[sgprOrigLoopCounter], s[sgprOrigLoopCounter], 0x8 // inc counterL
s_cmp_le_i32 s[sgprLoopCounterL], 0x0              // counterL<=0
s_cbranch_scc1 TailLoopEndL_7                      // exit LoopL


/* tail loop unroll iter 4 */


/* local read a */

_ds_load_b64 v[vgprValuA_X4_I0+0:vgprValuA_X4_I0+0+1], v[vgprLocalReadAddrA] offset:0 // L -> Reg lro=0 swapByteOffset=0 ti=32 vIdx=0 rIdx=0 oIdx=0 buffer=4 iui=0
_ds_load_b64 v[vgprValuA_X4_I0+2:vgprValuA_X4_I0+2+1], v[vgprLocalReadAddrA] offset:4608 // L -> Reg lro=0 swapByteOffset=0 ti=32 vIdx=1 rIdx=0 oIdx=0 buffer=4 iui=0
	;; [unrolled: 1-line block ×3, first 2 shown]


/* local read b */

_ds_load_b64 v[vgprValuB_X4_I0+0:vgprValuB_X4_I0+0+1], v[vgprLocalReadAddrB] offset:0 // L -> Reg lro=0 swapByteOffset=0 ti=128 vIdx=0 rIdx=0 oIdx=0 buffer=4 iui=0


/* local read inc a */

s_mov_b32 s55, 0x10                                // inc
_v_add_co_u32 v[vgprLocalReadAddrA], vcc, s55, v[vgprLocalReadAddrA] // lrA += 16 (LSU*bpe)


/* local read inc b */

s_mov_b32 s55, 0x10                                // inc
_v_add_co_u32 v[vgprLocalReadAddrB], vcc, s55, v[vgprLocalReadAddrB] // lrB += 16 (LSU*bpe)

s_waitcnt lgkmcnt(0)                               // lgkmcnt=0 vmcnt=-14wait for local read


	;; [unrolled: 1-line block ×3, first 2 shown]
/* tail loop mfma iter 4: numReadsIterCoalescedA=1, numReadsIterCoalescedB=1 */
v_and_b32 v99, 63, v[vgprSerial]                   // v99 = v[vgprSerial] % 64
v_lshrrev_b32 v99, 5, v99                          // v99 = v99 / 32
v_lshlrev_b32 v99, 0x2, v99                        // v99 = v99 * 4
v_cmp_ge_i32 s[56:57], v99, s[sgprLoopCounterL]    // check K index >= Size L
v_cndmask_b32 v[vgprValuA_X4_I0+0+0+0+0], v[vgprValuA_X4_I0+0+0+0+0], 0x0, s[56:57] // set 0 if K_idx >= sizeL
v_cndmask_b32 v[vgprValuA_X4_I0+2+0+0+0], v[vgprValuA_X4_I0+2+0+0+0], 0x0, s[56:57] // set 0 if K_idx >= sizeL
	;; [unrolled: 1-line block ×3, first 2 shown]
v_cndmask_b32 v[vgprValuB_X4_I0+0+0+0+0], v[vgprValuB_X4_I0+0+0+0+0], 0x0, s[56:57] // set 0 if K_idx >= sizeL
v_cndmask_b32 v[vgprValuA_X4_I0+0+0+0+1], v[vgprValuA_X4_I0+0+0+0+1], 0x0, s[56:57] // set 0 if K_idx >= sizeL
v_cndmask_b32 v[vgprValuA_X4_I0+2+0+0+1], v[vgprValuA_X4_I0+2+0+0+1], 0x0, s[56:57] // set 0 if K_idx >= sizeL
	;; [unrolled: 1-line block ×3, first 2 shown]
v_cndmask_b32 v[vgprValuB_X4_I0+0+0+0+1], v[vgprValuB_X4_I0+0+0+0+1], 0x0, s[56:57] // set 0 if K_idx >= sizeL
_v_sub_u32 v99, s[sgprLoopCounterL], v99           // get distance between size and k index
v_cmp_lt_i32 s[56:57], v99, 4                      // set partial 0 if distance less than input per thread
s_and_b32 s58, s[sgprLoopCounterL], 3              // get inputs for edge thread
s_sub_u32 s58, 4, s58                              // use shift to fill 0 for outside element
s_lshl_b32 s58, s58, 4                             // use shift to fill 0 for outside element
v_mov_b32 v100, -1                                 // set 0xffffffff
v_mov_b32 v101, -1                                 // set 0xffffffff
v_lshrrev_b64 v[100:101], s58, v[100:101]          // rshift mask for partial k
v_cndmask_b32 v100, -1, v100, s[56:57]             // select shifted mask for partial k
v_cndmask_b32 v101, -1, v101, s[56:57]             // select shifted mask for partial k
v_and_b32 v[vgprValuA_X4_I0+0+0+0+0], v[vgprValuA_X4_I0+0+0+0+0], v100 // 
v_and_b32 v[vgprValuA_X4_I0+0+0+0+1], v[vgprValuA_X4_I0+0+0+0+1], v101 // 
	;; [unrolled: 1-line block ×6, first 2 shown]
v_and_b32 v[vgprValuB_X4_I0+0+0+0+0], v[vgprValuB_X4_I0+0+0+0+0], v100 // 
v_and_b32 v[vgprValuB_X4_I0+0+0+0+1], v[vgprValuB_X4_I0+0+0+0+1], v101 // 
s_nop 1
v_mfma_f32_32x32x8bf16_1k a[0+0:15+0], v[vgprValuB_X4_I0+0+0+0:vgprValuB_X4_I0+0+0+0+1], v[vgprValuA_X4_I0+0+0+0:vgprValuA_X4_I0+0+0+0+1], a[0:15]
v_mfma_f32_32x32x8bf16_1k a[16+0:31+0], v[vgprValuB_X4_I0+0+0+0:vgprValuB_X4_I0+0+0+0+1], v[vgprValuA_X4_I0+2+0+0:vgprValuA_X4_I0+2+0+0+1], a[16:31]
	;; [unrolled: 1-line block ×3, first 2 shown]


/* closeLoop loopL finalLoop=0 tailLoop=1 */
s_sub_i32 s[sgprLoopCounterL], s[sgprLoopCounterL], 0x8 // dec counterL (tailLoop)
s_add_u32 s[sgprOrigLoopCounter], s[sgprOrigLoopCounter], 0x8 // inc counterL
s_cmp_le_i32 s[sgprLoopCounterL], 0x0              // counterL<=0
s_cbranch_scc1 TailLoopEndL_7                      // exit LoopL


/* tail loop unroll iter 5 */


/* local read a */

_ds_load_b64 v[vgprValuA_X5_I0+0:vgprValuA_X5_I0+0+1], v[vgprLocalReadAddrA] offset:0 // L -> Reg lro=0 swapByteOffset=0 ti=32 vIdx=0 rIdx=0 oIdx=0 buffer=5 iui=0
_ds_load_b64 v[vgprValuA_X5_I0+2:vgprValuA_X5_I0+2+1], v[vgprLocalReadAddrA] offset:4608 // L -> Reg lro=0 swapByteOffset=0 ti=32 vIdx=1 rIdx=0 oIdx=0 buffer=5 iui=0
	;; [unrolled: 1-line block ×3, first 2 shown]


/* local read b */

_ds_load_b64 v[vgprValuB_X5_I0+0:vgprValuB_X5_I0+0+1], v[vgprLocalReadAddrB] offset:0 // L -> Reg lro=0 swapByteOffset=0 ti=128 vIdx=0 rIdx=0 oIdx=0 buffer=5 iui=0


/* local read inc a */

s_mov_b32 s55, 0x10                                // inc
_v_add_co_u32 v[vgprLocalReadAddrA], vcc, s55, v[vgprLocalReadAddrA] // lrA += 16 (LSU*bpe)


/* local read inc b */

s_mov_b32 s55, 0x10                                // inc
_v_add_co_u32 v[vgprLocalReadAddrB], vcc, s55, v[vgprLocalReadAddrB] // lrB += 16 (LSU*bpe)

s_waitcnt lgkmcnt(0)                               // lgkmcnt=0 vmcnt=-14wait for local read


	;; [unrolled: 1-line block ×3, first 2 shown]
/* tail loop mfma iter 5: numReadsIterCoalescedA=1, numReadsIterCoalescedB=1 */
v_and_b32 v99, 63, v[vgprSerial]                   // v99 = v[vgprSerial] % 64
v_lshrrev_b32 v99, 5, v99                          // v99 = v99 / 32
v_lshlrev_b32 v99, 0x2, v99                        // v99 = v99 * 4
v_cmp_ge_i32 s[56:57], v99, s[sgprLoopCounterL]    // check K index >= Size L
v_cndmask_b32 v[vgprValuA_X5_I0+0+0+0+0], v[vgprValuA_X5_I0+0+0+0+0], 0x0, s[56:57] // set 0 if K_idx >= sizeL
v_cndmask_b32 v[vgprValuA_X5_I0+2+0+0+0], v[vgprValuA_X5_I0+2+0+0+0], 0x0, s[56:57] // set 0 if K_idx >= sizeL
	;; [unrolled: 1-line block ×3, first 2 shown]
v_cndmask_b32 v[vgprValuB_X5_I0+0+0+0+0], v[vgprValuB_X5_I0+0+0+0+0], 0x0, s[56:57] // set 0 if K_idx >= sizeL
v_cndmask_b32 v[vgprValuA_X5_I0+0+0+0+1], v[vgprValuA_X5_I0+0+0+0+1], 0x0, s[56:57] // set 0 if K_idx >= sizeL
v_cndmask_b32 v[vgprValuA_X5_I0+2+0+0+1], v[vgprValuA_X5_I0+2+0+0+1], 0x0, s[56:57] // set 0 if K_idx >= sizeL
	;; [unrolled: 1-line block ×3, first 2 shown]
v_cndmask_b32 v[vgprValuB_X5_I0+0+0+0+1], v[vgprValuB_X5_I0+0+0+0+1], 0x0, s[56:57] // set 0 if K_idx >= sizeL
_v_sub_u32 v99, s[sgprLoopCounterL], v99           // get distance between size and k index
v_cmp_lt_i32 s[56:57], v99, 4                      // set partial 0 if distance less than input per thread
s_and_b32 s58, s[sgprLoopCounterL], 3              // get inputs for edge thread
s_sub_u32 s58, 4, s58                              // use shift to fill 0 for outside element
s_lshl_b32 s58, s58, 4                             // use shift to fill 0 for outside element
v_mov_b32 v100, -1                                 // set 0xffffffff
v_mov_b32 v101, -1                                 // set 0xffffffff
v_lshrrev_b64 v[100:101], s58, v[100:101]          // rshift mask for partial k
v_cndmask_b32 v100, -1, v100, s[56:57]             // select shifted mask for partial k
v_cndmask_b32 v101, -1, v101, s[56:57]             // select shifted mask for partial k
v_and_b32 v[vgprValuA_X5_I0+0+0+0+0], v[vgprValuA_X5_I0+0+0+0+0], v100 // 
v_and_b32 v[vgprValuA_X5_I0+0+0+0+1], v[vgprValuA_X5_I0+0+0+0+1], v101 // 
	;; [unrolled: 1-line block ×6, first 2 shown]
v_and_b32 v[vgprValuB_X5_I0+0+0+0+0], v[vgprValuB_X5_I0+0+0+0+0], v100 // 
v_and_b32 v[vgprValuB_X5_I0+0+0+0+1], v[vgprValuB_X5_I0+0+0+0+1], v101 // 
s_nop 1
v_mfma_f32_32x32x8bf16_1k a[0+0:15+0], v[vgprValuB_X5_I0+0+0+0:vgprValuB_X5_I0+0+0+0+1], v[vgprValuA_X5_I0+0+0+0:vgprValuA_X5_I0+0+0+0+1], a[0:15]
v_mfma_f32_32x32x8bf16_1k a[16+0:31+0], v[vgprValuB_X5_I0+0+0+0:vgprValuB_X5_I0+0+0+0+1], v[vgprValuA_X5_I0+2+0+0:vgprValuA_X5_I0+2+0+0+1], a[16:31]
	;; [unrolled: 1-line block ×3, first 2 shown]


/* closeLoop loopL finalLoop=0 tailLoop=1 */
s_sub_i32 s[sgprLoopCounterL], s[sgprLoopCounterL], 0x8 // dec counterL (tailLoop)
s_add_u32 s[sgprOrigLoopCounter], s[sgprOrigLoopCounter], 0x8 // inc counterL
s_cmp_le_i32 s[sgprLoopCounterL], 0x0              // counterL<=0
s_cbranch_scc1 TailLoopEndL_7                      // exit LoopL


/* tail loop unroll iter 6 */


/* local read a */

_ds_load_b64 v[vgprValuA_X6_I0+0:vgprValuA_X6_I0+0+1], v[vgprLocalReadAddrA] offset:0 // L -> Reg lro=0 swapByteOffset=0 ti=32 vIdx=0 rIdx=0 oIdx=0 buffer=6 iui=0
_ds_load_b64 v[vgprValuA_X6_I0+2:vgprValuA_X6_I0+2+1], v[vgprLocalReadAddrA] offset:4608 // L -> Reg lro=0 swapByteOffset=0 ti=32 vIdx=1 rIdx=0 oIdx=0 buffer=6 iui=0
	;; [unrolled: 1-line block ×3, first 2 shown]


/* local read b */

_ds_load_b64 v[vgprValuB_X6_I0+0:vgprValuB_X6_I0+0+1], v[vgprLocalReadAddrB] offset:0 // L -> Reg lro=0 swapByteOffset=0 ti=128 vIdx=0 rIdx=0 oIdx=0 buffer=6 iui=0


/* local read inc a */

s_mov_b32 s55, 0x10                                // inc
_v_add_co_u32 v[vgprLocalReadAddrA], vcc, s55, v[vgprLocalReadAddrA] // lrA += 16 (LSU*bpe)


/* local read inc b */

s_mov_b32 s55, 0x10                                // inc
_v_add_co_u32 v[vgprLocalReadAddrB], vcc, s55, v[vgprLocalReadAddrB] // lrB += 16 (LSU*bpe)

s_waitcnt lgkmcnt(0)                               // lgkmcnt=0 vmcnt=-14wait for local read



/* tail loop mfma iter 6: numReadsIterCoalescedA=1, numReadsIterCoalescedB=1 */
v_and_b32 v99, 63, v[vgprSerial]                   // v99 = v[vgprSerial] % 64
v_lshrrev_b32 v99, 5, v99                          // v99 = v99 / 32
v_lshlrev_b32 v99, 0x2, v99                        // v99 = v99 * 4
v_cmp_ge_i32 s[56:57], v99, s[sgprLoopCounterL]    // check K index >= Size L
v_cndmask_b32 v[vgprValuA_X6_I0+0+0+0+0], v[vgprValuA_X6_I0+0+0+0+0], 0x0, s[56:57] // set 0 if K_idx >= sizeL
v_cndmask_b32 v[vgprValuA_X6_I0+2+0+0+0], v[vgprValuA_X6_I0+2+0+0+0], 0x0, s[56:57] // set 0 if K_idx >= sizeL
	;; [unrolled: 1-line block ×3, first 2 shown]
v_cndmask_b32 v[vgprValuB_X6_I0+0+0+0+0], v[vgprValuB_X6_I0+0+0+0+0], 0x0, s[56:57] // set 0 if K_idx >= sizeL
v_cndmask_b32 v[vgprValuA_X6_I0+0+0+0+1], v[vgprValuA_X6_I0+0+0+0+1], 0x0, s[56:57] // set 0 if K_idx >= sizeL
v_cndmask_b32 v[vgprValuA_X6_I0+2+0+0+1], v[vgprValuA_X6_I0+2+0+0+1], 0x0, s[56:57] // set 0 if K_idx >= sizeL
	;; [unrolled: 1-line block ×3, first 2 shown]
v_cndmask_b32 v[vgprValuB_X6_I0+0+0+0+1], v[vgprValuB_X6_I0+0+0+0+1], 0x0, s[56:57] // set 0 if K_idx >= sizeL
_v_sub_u32 v99, s[sgprLoopCounterL], v99           // get distance between size and k index
v_cmp_lt_i32 s[56:57], v99, 4                      // set partial 0 if distance less than input per thread
s_and_b32 s58, s[sgprLoopCounterL], 3              // get inputs for edge thread
s_sub_u32 s58, 4, s58                              // use shift to fill 0 for outside element
s_lshl_b32 s58, s58, 4                             // use shift to fill 0 for outside element
v_mov_b32 v100, -1                                 // set 0xffffffff
v_mov_b32 v101, -1                                 // set 0xffffffff
v_lshrrev_b64 v[100:101], s58, v[100:101]          // rshift mask for partial k
v_cndmask_b32 v100, -1, v100, s[56:57]             // select shifted mask for partial k
v_cndmask_b32 v101, -1, v101, s[56:57]             // select shifted mask for partial k
v_and_b32 v[vgprValuA_X6_I0+0+0+0+0], v[vgprValuA_X6_I0+0+0+0+0], v100 // 
v_and_b32 v[vgprValuA_X6_I0+0+0+0+1], v[vgprValuA_X6_I0+0+0+0+1], v101 // 
v_and_b32 v[vgprValuA_X6_I0+2+0+0+0], v[vgprValuA_X6_I0+2+0+0+0], v100 // 
v_and_b32 v[vgprValuA_X6_I0+2+0+0+1], v[vgprValuA_X6_I0+2+0+0+1], v101 // 
v_and_b32 v[vgprValuA_X6_I0+4+0+0+0], v[vgprValuA_X6_I0+4+0+0+0], v100 // 
v_and_b32 v[vgprValuA_X6_I0+4+0+0+1], v[vgprValuA_X6_I0+4+0+0+1], v101 // 
v_and_b32 v[vgprValuB_X6_I0+0+0+0+0], v[vgprValuB_X6_I0+0+0+0+0], v100 // 
v_and_b32 v[vgprValuB_X6_I0+0+0+0+1], v[vgprValuB_X6_I0+0+0+0+1], v101 // 
s_nop 1
v_mfma_f32_32x32x8bf16_1k a[0+0:15+0], v[vgprValuB_X6_I0+0+0+0:vgprValuB_X6_I0+0+0+0+1], v[vgprValuA_X6_I0+0+0+0:vgprValuA_X6_I0+0+0+0+1], a[0:15]
v_mfma_f32_32x32x8bf16_1k a[16+0:31+0], v[vgprValuB_X6_I0+0+0+0:vgprValuB_X6_I0+0+0+0+1], v[vgprValuA_X6_I0+2+0+0:vgprValuA_X6_I0+2+0+0+1], a[16:31]
	;; [unrolled: 1-line block ×3, first 2 shown]


/* closeLoop loopL finalLoop=0 tailLoop=1 */
s_sub_i32 s[sgprLoopCounterL], s[sgprLoopCounterL], 0x8 // dec counterL (tailLoop)
s_add_u32 s[sgprOrigLoopCounter], s[sgprOrigLoopCounter], 0x8 // inc counterL
s_cmp_le_i32 s[sgprLoopCounterL], 0x0              // counterL<=0
s_cbranch_scc1 TailLoopEndL_7                      // exit LoopL


/* tail loop unroll iter 7 */


/* local read a */

_ds_load_b64 v[vgprValuA_X7_I0+0:vgprValuA_X7_I0+0+1], v[vgprLocalReadAddrA] offset:0 // L -> Reg lro=0 swapByteOffset=0 ti=32 vIdx=0 rIdx=0 oIdx=0 buffer=7 iui=0
_ds_load_b64 v[vgprValuA_X7_I0+2:vgprValuA_X7_I0+2+1], v[vgprLocalReadAddrA] offset:4608 // L -> Reg lro=0 swapByteOffset=0 ti=32 vIdx=1 rIdx=0 oIdx=0 buffer=7 iui=0
	;; [unrolled: 1-line block ×3, first 2 shown]


/* local read b */

_ds_load_b64 v[vgprValuB_X7_I0+0:vgprValuB_X7_I0+0+1], v[vgprLocalReadAddrB] offset:0 // L -> Reg lro=0 swapByteOffset=0 ti=128 vIdx=0 rIdx=0 oIdx=0 buffer=7 iui=0


/* local read inc a */

s_mov_b32 s55, 0x20                                // inc
_v_add_co_u32 v[vgprLocalReadAddrA], vcc, s55, v[vgprLocalReadAddrA] // lrA += 32 (LSU*bpe)


/* local read inc b */

s_mov_b32 s55, 0x20                                // inc
_v_add_co_u32 v[vgprLocalReadAddrB], vcc, s55, v[vgprLocalReadAddrB] // lrB += 32 (LSU*bpe)

s_waitcnt lgkmcnt(0)                               // lgkmcnt=0 vmcnt=-14wait for local read


	;; [unrolled: 1-line block ×3, first 2 shown]
/* tail loop mfma iter 7: numReadsIterCoalescedA=1, numReadsIterCoalescedB=1 */
v_and_b32 v99, 63, v[vgprSerial]                   // v99 = v[vgprSerial] % 64
v_lshrrev_b32 v99, 5, v99                          // v99 = v99 / 32
v_lshlrev_b32 v99, 0x2, v99                        // v99 = v99 * 4
v_cmp_ge_i32 s[56:57], v99, s[sgprLoopCounterL]    // check K index >= Size L
v_cndmask_b32 v[vgprValuA_X7_I0+0+0+0+0], v[vgprValuA_X7_I0+0+0+0+0], 0x0, s[56:57] // set 0 if K_idx >= sizeL
v_cndmask_b32 v[vgprValuA_X7_I0+2+0+0+0], v[vgprValuA_X7_I0+2+0+0+0], 0x0, s[56:57] // set 0 if K_idx >= sizeL
	;; [unrolled: 1-line block ×3, first 2 shown]
v_cndmask_b32 v[vgprValuB_X7_I0+0+0+0+0], v[vgprValuB_X7_I0+0+0+0+0], 0x0, s[56:57] // set 0 if K_idx >= sizeL
v_cndmask_b32 v[vgprValuA_X7_I0+0+0+0+1], v[vgprValuA_X7_I0+0+0+0+1], 0x0, s[56:57] // set 0 if K_idx >= sizeL
v_cndmask_b32 v[vgprValuA_X7_I0+2+0+0+1], v[vgprValuA_X7_I0+2+0+0+1], 0x0, s[56:57] // set 0 if K_idx >= sizeL
v_cndmask_b32 v[vgprValuA_X7_I0+4+0+0+1], v[vgprValuA_X7_I0+4+0+0+1], 0x0, s[56:57] // set 0 if K_idx >= sizeL
v_cndmask_b32 v[vgprValuB_X7_I0+0+0+0+1], v[vgprValuB_X7_I0+0+0+0+1], 0x0, s[56:57] // set 0 if K_idx >= sizeL
_v_sub_u32 v99, s[sgprLoopCounterL], v99           // get distance between size and k index
v_cmp_lt_i32 s[56:57], v99, 4                      // set partial 0 if distance less than input per thread
s_and_b32 s58, s[sgprLoopCounterL], 3              // get inputs for edge thread
s_sub_u32 s58, 4, s58                              // use shift to fill 0 for outside element
s_lshl_b32 s58, s58, 4                             // use shift to fill 0 for outside element
v_mov_b32 v100, -1                                 // set 0xffffffff
v_mov_b32 v101, -1                                 // set 0xffffffff
v_lshrrev_b64 v[100:101], s58, v[100:101]          // rshift mask for partial k
v_cndmask_b32 v100, -1, v100, s[56:57]             // select shifted mask for partial k
v_cndmask_b32 v101, -1, v101, s[56:57]             // select shifted mask for partial k
v_and_b32 v[vgprValuA_X7_I0+0+0+0+0], v[vgprValuA_X7_I0+0+0+0+0], v100 // 
v_and_b32 v[vgprValuA_X7_I0+0+0+0+1], v[vgprValuA_X7_I0+0+0+0+1], v101 // 
	;; [unrolled: 1-line block ×6, first 2 shown]
v_and_b32 v[vgprValuB_X7_I0+0+0+0+0], v[vgprValuB_X7_I0+0+0+0+0], v100 // 
v_and_b32 v[vgprValuB_X7_I0+0+0+0+1], v[vgprValuB_X7_I0+0+0+0+1], v101 // 
s_nop 1
v_mfma_f32_32x32x8bf16_1k a[0+0:15+0], v[vgprValuB_X7_I0+0+0+0:vgprValuB_X7_I0+0+0+0+1], v[vgprValuA_X7_I0+0+0+0:vgprValuA_X7_I0+0+0+0+1], a[0:15]
v_mfma_f32_32x32x8bf16_1k a[16+0:31+0], v[vgprValuB_X7_I0+0+0+0:vgprValuB_X7_I0+0+0+0+1], v[vgprValuA_X7_I0+2+0+0:vgprValuA_X7_I0+2+0+0+1], a[16:31]
	;; [unrolled: 1-line block ×3, first 2 shown]


/* closeLoop loopL finalLoop=1 tailLoop=1 */
s_sub_i32 s[sgprLoopCounterL], s[sgprLoopCounterL], 0x8 // dec counterL (tailLoop)
s_add_u32 s[sgprOrigLoopCounter], s[sgprOrigLoopCounter], 0x8 // inc counterL
s_cmp_le_i32 s[sgprLoopCounterL], 0x0              // counterL<=0
s_cbranch_scc0 TailLoopBeginL_6                    // restart LoopL
TailLoopEndL_7:

SkipTailLoopL_8:

Summation_End_30:
/* endSummation: add vgpr [0...96) to pool */
.set NumFullBlocks, UNDEF
.set WgmRemainder1, UNDEF
.set MagicNumberWgmRemainder1, UNDEF

/* Mapping of Acc register -> C Vgpr register */


	;; [unrolled: 1-line block ×3, first 2 shown]
/* not-LocalSplitU: global write indices */

/* computeStoreVgprs */
v_lshrrev_b32 v4, 6, v[vgprSerial]                 // v4 = v[vgprSerial] / 64
v_and_b32 v1, 63, v[vgprSerial]                    // v1 = v[vgprSerial] % 64
v_lshrrev_b32 v1, 5, v1                            // v1 = v1 / 32
v_lshlrev_b32 v1, 0x2, v1                          // thread0 * continuous_output
v_lshrrev_b32 v5, 0, v4                            // v5 = v4 / 1
v_mul_lo_u32 v5, 0x20, v5                          // wave coordination offset 1
_v_add_lshl_u32 v1, v5, v1, 0                      // coordination 1 = vwb *(wave_id1 + tid1)
v_mul_lo_u32 v2, v1, s[sgprStrideC1J]              //  offset 1
v_mul_lo_u32 v3, v1, s[sgprStrideD1J]              //  offset 1
v_and_b32 v5, 0, v4                                // v5 = v4 % 1
v_and_b32 v0, 31, v[vgprSerial]                    // v0 = v[vgprSerial] % 32
_v_add_lshl_u32 v0, v5, v0, 0                      // coordination 0 = vwa *(wave_id0 + tid0)
s_mul_i32 s52, 96, s[sgprWorkGroup0]               // wgp0 * MT0
_v_add_u32 v0, s52, v0                             // coord 0 = (tid0/MI_m)*4 + waveG0*MIB_m + MT0*SG0
s_mul_i32 s52, 128, s[sgprWorkGroup1]              // wgp1 * MT1
_v_add_u32 v1, s52, v1                             // coord 1 = (tid0%MI_m) + waveG1*MIB_n + MT1*SG1


/* not-LocalSplitU: global write */

s_cmpk_eq_u32 s[sgprBeta], 0x0                     // Beta == 0
s_cbranch_scc0 GW_Beta_45                          // Branch if Beta is not zero

s_mov_b32 s55, 0x0                                 // STATIC_DIV: divisior=96
s_mul_i32 s54, 0x555, s[sgprSizeI]                 // tmp1 = dividend * magic hi
s_lshl_b64 s[54:55], s[54:55], 0x10                // left shift 16 bits
s_mul_i32 s53, s[sgprSizeI], 0x5556                // tmp0 = dividend * magic lo
s_add_u32 s54, s53, s54                            // add lo
s_addc_u32 s55, s55, 0x0                           // add hi
s_lshr_b64 s[54:55], s[54:55], 0x21                // tmp1 = (dividend * magic) << shift
s_mov_b32 s53, s54                                 // quotient
s_mul_i32 s54, s53, 0x60                           // quotient*divisor
s_sub_u32 s52, s[sgprSizeI], s54                   // rReg = dividend - quotient*divisor
s_add_u32 s53, -0x1, s[sgprNumWorkGroups0]         // 
s_cmp_ge_u32 s[sgprWorkGroup0], s53                // wg0 >= nwg0-1 ?
s_cselect_b32 s52, s52, 0                          // set rMT0
s_cmpk_gt_u32 s52, 0x0                             // rMT0 > 0
s_cbranch_scc1 GW_B0_E1_36                         // jump if edges required
s_and_b32 s52, 127, s[sgprSizeJ]                   // s52 = s[sgprSizeJ] % 128
s_add_u32 s53, -0x1, s[sgprNumWorkGroups1]         // 
s_cmp_ge_u32 s[sgprWorkGroup1], s53                // wg1 >= nwg1-1
s_cselect_b32 s52, s52, 0                          // set rMT1
s_cmpk_gt_u32 s52, 0x0                             // rMT1 > 0
s_cbranch_scc1 GW_B0_E1_36                         // jump if edges required
GW_B0_E0_33:

/* edge=0, allocate 2 sgpr. perBatchTmpS=2 perBatchMaskS=0 perElementMaskS=0 elementsPerBatch=192 */
/* optSingleColVgpr=1 optSharedColVgpr=0 optSGPRUsage=BufferLoad_Mask optSrdIncForRow=1 */
s_sleep 3 // optimization: sync and wait
s_barrier

/******************************************/
/* Global Write Alpha Batch #0 (d1,d0,vc1,vc0) = */
/*    (0,0,0,0:vw1); (0,1,0,0:vw1); (0,2,0,0:vw1); (0,0,1,0:vw1); (0,1,1,0:vw1); (0,2,1,0:vw1); (0,0,2,0:vw1); (0,1,2,0:vw1); (0,2,2,0:vw1); (0,0,3,0:vw1); (0,1,3,0:vw1); (0,2,3,0:vw1); (1,0,0,0:vw1); (1,1,0,0:vw1); (1,2,0,0:vw1); (1,0,1,0:vw1); (1,1,1,0:vw1); (1,2,1,0:vw1); (1,0,2,0:vw1); (1,1,2,0:vw1); (1,2,2,0:vw1); (1,0,3,0:vw1); (1,1,3,0:vw1); (1,2,3,0:vw1); (2,0,0,0:vw1); (2,1,0,0:vw1); (2,2,0,0:vw1); (2,0,1,0:vw1); (2,1,1,0:vw1); (2,2,1,0:vw1); (2,0,2,0:vw1); (2,1,2,0:vw1); (2,2,2,0:vw1); (2,0,3,0:vw1); (2,1,3,0:vw1); (2,2,3,0:vw1); (3,0,0,0:vw1); (3,1,0,0:vw1); (3,2,0,0:vw1); (3,0,1,0:vw1); (3,1,1,0:vw1); (3,2,1,0:vw1); (3,0,2,0:vw1); (3,1,2,0:vw1); (3,2,2,0:vw1); (3,0,3,0:vw1); (3,1,3,0:vw1); (3,2,3,0:vw1) */
/******************************************/

/* calc coords, apply mask, and issue loads (if necessary) */
/* (d1,vc1,d0,vc0)=(0,0,0,0) */
/* (d1,vc1,d0,vc0)=(0,0,1,0) */
	;; [unrolled: 1-line block ×48, first 2 shown]
_v_add_lshl_u32 v10, v3, v0, 0x1                   // optSingleColVgpr scaleToBpe: sharedAddrVgpr <- cinRowPtr + coord0, scaled by BPE. BSHERE:coord0=0, coord0Vgpr=0
v_accvgpr_read_b32 v[vgprValuC+12], acc0 // copy acc to vreg[0]
v_accvgpr_read_b32 v[vgprValuC+13], acc16 // copy acc to vreg[1]
v_accvgpr_read_b32 v[vgprValuC+14], acc32 // copy acc to vreg[2]
v_accvgpr_read_b32 v[vgprValuC+15], acc1 // copy acc to vreg[3]
v_accvgpr_read_b32 v[vgprValuC+16], acc17 // copy acc to vreg[4]
v_accvgpr_read_b32 v[vgprValuC+17], acc33 // copy acc to vreg[5]
v_accvgpr_read_b32 v[vgprValuC+18], acc2 // copy acc to vreg[6]
v_accvgpr_read_b32 v[vgprValuC+19], acc18 // copy acc to vreg[7]
v_accvgpr_read_b32 v[vgprValuC+20], acc34 // copy acc to vreg[8]
v_accvgpr_read_b32 v[vgprValuC+21], acc3 // copy acc to vreg[9]
v_accvgpr_read_b32 v[vgprValuC+22], acc19 // copy acc to vreg[10]
v_accvgpr_read_b32 v[vgprValuC+23], acc35 // copy acc to vreg[11]
v_accvgpr_read_b32 v[vgprValuC+24], acc4 // copy acc to vreg[12]
v_accvgpr_read_b32 v[vgprValuC+25], acc20 // copy acc to vreg[13]
v_accvgpr_read_b32 v[vgprValuC+26], acc36 // copy acc to vreg[14]
v_accvgpr_read_b32 v[vgprValuC+27], acc5 // copy acc to vreg[15]
v_accvgpr_read_b32 v[vgprValuC+28], acc21 // copy acc to vreg[16]
v_accvgpr_read_b32 v[vgprValuC+29], acc37 // copy acc to vreg[17]
v_accvgpr_read_b32 v[vgprValuC+30], acc6 // copy acc to vreg[18]
v_accvgpr_read_b32 v[vgprValuC+31], acc22 // copy acc to vreg[19]
v_accvgpr_read_b32 v[vgprValuC+32], acc38 // copy acc to vreg[20]
v_accvgpr_read_b32 v[vgprValuC+33], acc7 // copy acc to vreg[21]
v_accvgpr_read_b32 v[vgprValuC+34], acc23 // copy acc to vreg[22]
v_accvgpr_read_b32 v[vgprValuC+35], acc39 // copy acc to vreg[23]
v_accvgpr_read_b32 v[vgprValuC+36], acc8 // copy acc to vreg[24]
v_accvgpr_read_b32 v[vgprValuC+37], acc24 // copy acc to vreg[25]
v_accvgpr_read_b32 v[vgprValuC+38], acc40 // copy acc to vreg[26]
v_accvgpr_read_b32 v[vgprValuC+39], acc9 // copy acc to vreg[27]
v_accvgpr_read_b32 v[vgprValuC+40], acc25 // copy acc to vreg[28]
v_accvgpr_read_b32 v[vgprValuC+41], acc41 // copy acc to vreg[29]
v_accvgpr_read_b32 v[vgprValuC+42], acc10 // copy acc to vreg[30]
v_accvgpr_read_b32 v[vgprValuC+43], acc26 // copy acc to vreg[31]
v_accvgpr_read_b32 v[vgprValuC+44], acc42 // copy acc to vreg[32]
v_accvgpr_read_b32 v[vgprValuC+45], acc11 // copy acc to vreg[33]
v_accvgpr_read_b32 v[vgprValuC+46], acc27 // copy acc to vreg[34]
v_accvgpr_read_b32 v[vgprValuC+47], acc43 // copy acc to vreg[35]
v_accvgpr_read_b32 v[vgprValuC+48], acc12 // copy acc to vreg[36]
v_accvgpr_read_b32 v[vgprValuC+49], acc28 // copy acc to vreg[37]
v_accvgpr_read_b32 v[vgprValuC+50], acc44 // copy acc to vreg[38]
v_accvgpr_read_b32 v[vgprValuC+51], acc13 // copy acc to vreg[39]
v_accvgpr_read_b32 v[vgprValuC+52], acc29 // copy acc to vreg[40]
v_accvgpr_read_b32 v[vgprValuC+53], acc45 // copy acc to vreg[41]
v_accvgpr_read_b32 v[vgprValuC+54], acc14 // copy acc to vreg[42]
v_accvgpr_read_b32 v[vgprValuC+55], acc30 // copy acc to vreg[43]
v_accvgpr_read_b32 v[vgprValuC+56], acc46 // copy acc to vreg[44]
v_accvgpr_read_b32 v[vgprValuC+57], acc15 // copy acc to vreg[45]
v_accvgpr_read_b32 v[vgprValuC+58], acc31 // copy acc to vreg[46]
v_accvgpr_read_b32 v[vgprValuC+59], acc47 // copy acc to vreg[47]
s_nop 1                                            // 2 wait states required before reading vgpr

/* rC *= alpha batchElements=[(0, 0, 0, 0), (0, 1, 0, 0), (0, 2, 0, 0), (0, 0, 1, 0), (0, 1, 1, 0), (0, 2, 1, 0), (0, 0, 2, 0), (0, 1, 2, 0), (0, 2, 2, 0), (0, 0, 3, 0), (0, 1, 3, 0), (0, 2, 3, 0), (1, 0, 0, 0), (1, 1, 0, 0), (1, 2, 0, 0), (1, 0, 1, 0), (1, 1, 1, 0), (1, 2, 1, 0), (1, 0, 2, 0), (1, 1, 2, 0), (1, 2, 2, 0), (1, 0, 3, 0), (1, 1, 3, 0), (1, 2, 3, 0), (2, 0, 0, 0), (2, 1, 0, 0), (2, 2, 0, 0), (2, 0, 1, 0), (2, 1, 1, 0), (2, 2, 1, 0), (2, 0, 2, 0), (2, 1, 2, 0), (2, 2, 2, 0), (2, 0, 3, 0), (2, 1, 3, 0), (2, 2, 3, 0), (3, 0, 0, 0), (3, 1, 0, 0), (3, 2, 0, 0), (3, 0, 1, 0), (3, 1, 1, 0), (3, 2, 1, 0), (3, 0, 2, 0), (3, 1, 2, 0), (3, 2, 2, 0), (3, 0, 3, 0), (3, 1, 3, 0), (3, 2, 3, 0)] */
v_mul_f32 v[vgprValuC+12], s[sgprAlpha], v[vgprValuC+12] // *= alpha
v_mul_f32 v[vgprValuC+13], s[sgprAlpha], v[vgprValuC+13] // *= alpha
	;; [unrolled: 1-line block ×48, first 2 shown]

/* apply mask, calc new C and issue writes */
v_mov_b32 v7, 0xffff0000                           // mask for pack two bfloat16 element to 32bit
v_mov_b32 v8, 0x7fff0000                           // fp32 Nan
v_mov_b32 v9, 0x7fff                               // rounding bias for bfloat16
v_cmp_u_f32 s[52:53], v[vgprValuC+12], v[vgprValuC+12] // check Nan
v_bfe_u32 v6, v[vgprValuC+12], 16, 1               // Non-Nan case: store lsb of bf16
v_add3_u32 v6, v[vgprValuC+12], v6, v9             // Non-Nan case: add lsb and the increment for rounding
v_cndmask_b32 v[vgprValuC+12], v6, v8, s[52:53]    // 
v_lshrrev_b32 v[vgprValuC+12], 16, v[vgprValuC+12] // convert C to bf16
_buffer_store_b16 v12, v10, s[sgprSrdD:sgprSrdD+3], 0, offen, offset:0 // store D
v_cmp_u_f32 s[52:53], v[vgprValuC+13], v[vgprValuC+13] // check Nan
v_bfe_u32 v6, v[vgprValuC+13], 16, 1               // Non-Nan case: store lsb of bf16
v_add3_u32 v6, v[vgprValuC+13], v6, v9             // Non-Nan case: add lsb and the increment for rounding
v_cndmask_b32 v[vgprValuC+13], v6, v8, s[52:53]    // 
v_lshrrev_b32 v[vgprValuC+13], 16, v[vgprValuC+13] // convert C to bf16
_buffer_store_b16 v13, v10, s[sgprSrdD:sgprSrdD+3], 0, offen, offset:64 // store D
v_cmp_u_f32 s[52:53], v[vgprValuC+14], v[vgprValuC+14] // check Nan
v_bfe_u32 v6, v[vgprValuC+14], 16, 1               // Non-Nan case: store lsb of bf16
v_add3_u32 v6, v[vgprValuC+14], v6, v9             // Non-Nan case: add lsb and the increment for rounding
v_cndmask_b32 v[vgprValuC+14], v6, v8, s[52:53]    // 
v_lshrrev_b32 v[vgprValuC+14], 16, v[vgprValuC+14] // convert C to bf16
_buffer_store_b16 v14, v10, s[sgprSrdD:sgprSrdD+3], 0, offen, offset:128 // store D
v_cmp_u_f32 s[52:53], v[vgprValuC+15], v[vgprValuC+15] // check Nan
v_bfe_u32 v6, v[vgprValuC+15], 16, 1               // Non-Nan case: store lsb of bf16
v_add3_u32 v6, v[vgprValuC+15], v6, v9             // Non-Nan case: add lsb and the increment for rounding
v_cndmask_b32 v[vgprValuC+15], v6, v8, s[52:53]    // 
v_lshrrev_b32 v[vgprValuC+15], 16, v[vgprValuC+15] // convert C to bf16
s_lshl_b32  s52, s[sgprStrideD1J], 1               // incToNextRow: Scale by BPE
s_add_u32  s[sgprSrdD+0], s[sgprSrdD+0], s52       // incToNextRow: gra SRD += inc(lower)
s_addc_u32  s[sgprSrdD+1], s[sgprSrdD+1], 0        // incToNextRow: gra SRD += inc(upper)
_buffer_store_b16 v15, v10, s[sgprSrdD:sgprSrdD+3], 0, offen, offset:0 // store D
v_cmp_u_f32 s[52:53], v[vgprValuC+16], v[vgprValuC+16] // check Nan
v_bfe_u32 v6, v[vgprValuC+16], 16, 1               // Non-Nan case: store lsb of bf16
v_add3_u32 v6, v[vgprValuC+16], v6, v9             // Non-Nan case: add lsb and the increment for rounding
v_cndmask_b32 v[vgprValuC+16], v6, v8, s[52:53]    // 
v_lshrrev_b32 v[vgprValuC+16], 16, v[vgprValuC+16] // convert C to bf16
_buffer_store_b16 v16, v10, s[sgprSrdD:sgprSrdD+3], 0, offen, offset:64 // store D
v_cmp_u_f32 s[52:53], v[vgprValuC+17], v[vgprValuC+17] // check Nan
v_bfe_u32 v6, v[vgprValuC+17], 16, 1               // Non-Nan case: store lsb of bf16
v_add3_u32 v6, v[vgprValuC+17], v6, v9             // Non-Nan case: add lsb and the increment for rounding
v_cndmask_b32 v[vgprValuC+17], v6, v8, s[52:53]    // 
v_lshrrev_b32 v[vgprValuC+17], 16, v[vgprValuC+17] // convert C to bf16
_buffer_store_b16 v17, v10, s[sgprSrdD:sgprSrdD+3], 0, offen, offset:128 // store D
v_cmp_u_f32 s[52:53], v[vgprValuC+18], v[vgprValuC+18] // check Nan
v_bfe_u32 v6, v[vgprValuC+18], 16, 1               // Non-Nan case: store lsb of bf16
v_add3_u32 v6, v[vgprValuC+18], v6, v9             // Non-Nan case: add lsb and the increment for rounding
v_cndmask_b32 v[vgprValuC+18], v6, v8, s[52:53]    // 
v_lshrrev_b32 v[vgprValuC+18], 16, v[vgprValuC+18] // convert C to bf16
s_lshl_b32  s52, s[sgprStrideD1J], 1               // incToNextRow: Scale by BPE
s_add_u32  s[sgprSrdD+0], s[sgprSrdD+0], s52       // incToNextRow: gra SRD += inc(lower)
s_addc_u32  s[sgprSrdD+1], s[sgprSrdD+1], 0        // incToNextRow: gra SRD += inc(upper)
_buffer_store_b16 v18, v10, s[sgprSrdD:sgprSrdD+3], 0, offen, offset:0 // store D
v_cmp_u_f32 s[52:53], v[vgprValuC+19], v[vgprValuC+19] // check Nan
v_bfe_u32 v6, v[vgprValuC+19], 16, 1               // Non-Nan case: store lsb of bf16
v_add3_u32 v6, v[vgprValuC+19], v6, v9             // Non-Nan case: add lsb and the increment for rounding
v_cndmask_b32 v[vgprValuC+19], v6, v8, s[52:53]    // 
v_lshrrev_b32 v[vgprValuC+19], 16, v[vgprValuC+19] // convert C to bf16
_buffer_store_b16 v19, v10, s[sgprSrdD:sgprSrdD+3], 0, offen, offset:64 // store D
v_cmp_u_f32 s[52:53], v[vgprValuC+20], v[vgprValuC+20] // check Nan
v_bfe_u32 v6, v[vgprValuC+20], 16, 1               // Non-Nan case: store lsb of bf16
v_add3_u32 v6, v[vgprValuC+20], v6, v9             // Non-Nan case: add lsb and the increment for rounding
v_cndmask_b32 v[vgprValuC+20], v6, v8, s[52:53]    // 
v_lshrrev_b32 v[vgprValuC+20], 16, v[vgprValuC+20] // convert C to bf16
_buffer_store_b16 v20, v10, s[sgprSrdD:sgprSrdD+3], 0, offen, offset:128 // store D
	;; [unrolled: 21-line block ×3, first 2 shown]
v_cmp_u_f32 s[52:53], v[vgprValuC+24], v[vgprValuC+24] // check Nan
v_bfe_u32 v6, v[vgprValuC+24], 16, 1               // Non-Nan case: store lsb of bf16
v_add3_u32 v6, v[vgprValuC+24], v6, v9             // Non-Nan case: add lsb and the increment for rounding
v_cndmask_b32 v[vgprValuC+24], v6, v8, s[52:53]    // 
v_lshrrev_b32 v[vgprValuC+24], 16, v[vgprValuC+24] // convert C to bf16
s_mul_i32 s52, s[sgprStrideD1J], 10                // scale StrideD *= numRows(5) * bpe
s_add_u32  s[sgprSrdD+0], s[sgprSrdD+0], s52       // incToNextRow: gra SRD += inc(lower)
s_addc_u32  s[sgprSrdD+1], s[sgprSrdD+1], 0        // incToNextRow: gra SRD += inc(upper)
_buffer_store_b16 v24, v10, s[sgprSrdD:sgprSrdD+3], 0, offen, offset:0 // store D
v_cmp_u_f32 s[52:53], v[vgprValuC+25], v[vgprValuC+25] // check Nan
v_bfe_u32 v6, v[vgprValuC+25], 16, 1               // Non-Nan case: store lsb of bf16
v_add3_u32 v6, v[vgprValuC+25], v6, v9             // Non-Nan case: add lsb and the increment for rounding
v_cndmask_b32 v[vgprValuC+25], v6, v8, s[52:53]    // 
v_lshrrev_b32 v[vgprValuC+25], 16, v[vgprValuC+25] // convert C to bf16
_buffer_store_b16 v25, v10, s[sgprSrdD:sgprSrdD+3], 0, offen, offset:64 // store D
v_cmp_u_f32 s[52:53], v[vgprValuC+26], v[vgprValuC+26] // check Nan
v_bfe_u32 v6, v[vgprValuC+26], 16, 1               // Non-Nan case: store lsb of bf16
v_add3_u32 v6, v[vgprValuC+26], v6, v9             // Non-Nan case: add lsb and the increment for rounding
v_cndmask_b32 v[vgprValuC+26], v6, v8, s[52:53]    // 
v_lshrrev_b32 v[vgprValuC+26], 16, v[vgprValuC+26] // convert C to bf16
_buffer_store_b16 v26, v10, s[sgprSrdD:sgprSrdD+3], 0, offen, offset:128 // store D
v_cmp_u_f32 s[52:53], v[vgprValuC+27], v[vgprValuC+27] // check Nan
v_bfe_u32 v6, v[vgprValuC+27], 16, 1               // Non-Nan case: store lsb of bf16
v_add3_u32 v6, v[vgprValuC+27], v6, v9             // Non-Nan case: add lsb and the increment for rounding
v_cndmask_b32 v[vgprValuC+27], v6, v8, s[52:53]    // 
v_lshrrev_b32 v[vgprValuC+27], 16, v[vgprValuC+27] // convert C to bf16
s_lshl_b32  s52, s[sgprStrideD1J], 1               // incToNextRow: Scale by BPE
s_add_u32  s[sgprSrdD+0], s[sgprSrdD+0], s52       // incToNextRow: gra SRD += inc(lower)
s_addc_u32  s[sgprSrdD+1], s[sgprSrdD+1], 0        // incToNextRow: gra SRD += inc(upper)
_buffer_store_b16 v27, v10, s[sgprSrdD:sgprSrdD+3], 0, offen, offset:0 // store D
v_cmp_u_f32 s[52:53], v[vgprValuC+28], v[vgprValuC+28] // check Nan
v_bfe_u32 v6, v[vgprValuC+28], 16, 1               // Non-Nan case: store lsb of bf16
v_add3_u32 v6, v[vgprValuC+28], v6, v9             // Non-Nan case: add lsb and the increment for rounding
v_cndmask_b32 v[vgprValuC+28], v6, v8, s[52:53]    // 
v_lshrrev_b32 v[vgprValuC+28], 16, v[vgprValuC+28] // convert C to bf16
_buffer_store_b16 v28, v10, s[sgprSrdD:sgprSrdD+3], 0, offen, offset:64 // store D
v_cmp_u_f32 s[52:53], v[vgprValuC+29], v[vgprValuC+29] // check Nan
v_bfe_u32 v6, v[vgprValuC+29], 16, 1               // Non-Nan case: store lsb of bf16
v_add3_u32 v6, v[vgprValuC+29], v6, v9             // Non-Nan case: add lsb and the increment for rounding
v_cndmask_b32 v[vgprValuC+29], v6, v8, s[52:53]    // 
v_lshrrev_b32 v[vgprValuC+29], 16, v[vgprValuC+29] // convert C to bf16
_buffer_store_b16 v29, v10, s[sgprSrdD:sgprSrdD+3], 0, offen, offset:128 // store D
v_cmp_u_f32 s[52:53], v[vgprValuC+30], v[vgprValuC+30] // check Nan
v_bfe_u32 v6, v[vgprValuC+30], 16, 1               // Non-Nan case: store lsb of bf16
v_add3_u32 v6, v[vgprValuC+30], v6, v9             // Non-Nan case: add lsb and the increment for rounding
v_cndmask_b32 v[vgprValuC+30], v6, v8, s[52:53]    // 
v_lshrrev_b32 v[vgprValuC+30], 16, v[vgprValuC+30] // convert C to bf16
s_lshl_b32  s52, s[sgprStrideD1J], 1               // incToNextRow: Scale by BPE
	;; [unrolled: 21-line block ×3, first 2 shown]
s_add_u32  s[sgprSrdD+0], s[sgprSrdD+0], s52       // incToNextRow: gra SRD += inc(lower)
s_addc_u32  s[sgprSrdD+1], s[sgprSrdD+1], 0        // incToNextRow: gra SRD += inc(upper)
_buffer_store_b16 v33, v10, s[sgprSrdD:sgprSrdD+3], 0, offen, offset:0 // store D
v_cmp_u_f32 s[52:53], v[vgprValuC+34], v[vgprValuC+34] // check Nan
v_bfe_u32 v6, v[vgprValuC+34], 16, 1               // Non-Nan case: store lsb of bf16
v_add3_u32 v6, v[vgprValuC+34], v6, v9             // Non-Nan case: add lsb and the increment for rounding
v_cndmask_b32 v[vgprValuC+34], v6, v8, s[52:53]    // 
v_lshrrev_b32 v[vgprValuC+34], 16, v[vgprValuC+34] // convert C to bf16
_buffer_store_b16 v34, v10, s[sgprSrdD:sgprSrdD+3], 0, offen, offset:64 // store D
v_cmp_u_f32 s[52:53], v[vgprValuC+35], v[vgprValuC+35] // check Nan
v_bfe_u32 v6, v[vgprValuC+35], 16, 1               // Non-Nan case: store lsb of bf16
v_add3_u32 v6, v[vgprValuC+35], v6, v9             // Non-Nan case: add lsb and the increment for rounding
v_cndmask_b32 v[vgprValuC+35], v6, v8, s[52:53]    // 
v_lshrrev_b32 v[vgprValuC+35], 16, v[vgprValuC+35] // convert C to bf16
	;; [unrolled: 6-line block ×3, first 2 shown]
s_mul_i32 s52, s[sgprStrideD1J], 10                // scale StrideD *= numRows(5) * bpe
s_add_u32  s[sgprSrdD+0], s[sgprSrdD+0], s52       // incToNextRow: gra SRD += inc(lower)
s_addc_u32  s[sgprSrdD+1], s[sgprSrdD+1], 0        // incToNextRow: gra SRD += inc(upper)
_buffer_store_b16 v36, v10, s[sgprSrdD:sgprSrdD+3], 0, offen, offset:0 // store D
v_cmp_u_f32 s[52:53], v[vgprValuC+37], v[vgprValuC+37] // check Nan
v_bfe_u32 v6, v[vgprValuC+37], 16, 1               // Non-Nan case: store lsb of bf16
v_add3_u32 v6, v[vgprValuC+37], v6, v9             // Non-Nan case: add lsb and the increment for rounding
v_cndmask_b32 v[vgprValuC+37], v6, v8, s[52:53]    // 
v_lshrrev_b32 v[vgprValuC+37], 16, v[vgprValuC+37] // convert C to bf16
_buffer_store_b16 v37, v10, s[sgprSrdD:sgprSrdD+3], 0, offen, offset:64 // store D
v_cmp_u_f32 s[52:53], v[vgprValuC+38], v[vgprValuC+38] // check Nan
v_bfe_u32 v6, v[vgprValuC+38], 16, 1               // Non-Nan case: store lsb of bf16
v_add3_u32 v6, v[vgprValuC+38], v6, v9             // Non-Nan case: add lsb and the increment for rounding
v_cndmask_b32 v[vgprValuC+38], v6, v8, s[52:53]    // 
v_lshrrev_b32 v[vgprValuC+38], 16, v[vgprValuC+38] // convert C to bf16
_buffer_store_b16 v38, v10, s[sgprSrdD:sgprSrdD+3], 0, offen, offset:128 // store D
v_cmp_u_f32 s[52:53], v[vgprValuC+39], v[vgprValuC+39] // check Nan
v_bfe_u32 v6, v[vgprValuC+39], 16, 1               // Non-Nan case: store lsb of bf16
v_add3_u32 v6, v[vgprValuC+39], v6, v9             // Non-Nan case: add lsb and the increment for rounding
v_cndmask_b32 v[vgprValuC+39], v6, v8, s[52:53]    // 
v_lshrrev_b32 v[vgprValuC+39], 16, v[vgprValuC+39] // convert C to bf16
s_lshl_b32  s52, s[sgprStrideD1J], 1               // incToNextRow: Scale by BPE
s_add_u32  s[sgprSrdD+0], s[sgprSrdD+0], s52       // incToNextRow: gra SRD += inc(lower)
s_addc_u32  s[sgprSrdD+1], s[sgprSrdD+1], 0        // incToNextRow: gra SRD += inc(upper)
_buffer_store_b16 v39, v10, s[sgprSrdD:sgprSrdD+3], 0, offen, offset:0 // store D
v_cmp_u_f32 s[52:53], v[vgprValuC+40], v[vgprValuC+40] // check Nan
v_bfe_u32 v6, v[vgprValuC+40], 16, 1               // Non-Nan case: store lsb of bf16
v_add3_u32 v6, v[vgprValuC+40], v6, v9             // Non-Nan case: add lsb and the increment for rounding
v_cndmask_b32 v[vgprValuC+40], v6, v8, s[52:53]    // 
v_lshrrev_b32 v[vgprValuC+40], 16, v[vgprValuC+40] // convert C to bf16
_buffer_store_b16 v40, v10, s[sgprSrdD:sgprSrdD+3], 0, offen, offset:64 // store D
v_cmp_u_f32 s[52:53], v[vgprValuC+41], v[vgprValuC+41] // check Nan
v_bfe_u32 v6, v[vgprValuC+41], 16, 1               // Non-Nan case: store lsb of bf16
v_add3_u32 v6, v[vgprValuC+41], v6, v9             // Non-Nan case: add lsb and the increment for rounding
v_cndmask_b32 v[vgprValuC+41], v6, v8, s[52:53]    // 
v_lshrrev_b32 v[vgprValuC+41], 16, v[vgprValuC+41] // convert C to bf16
_buffer_store_b16 v41, v10, s[sgprSrdD:sgprSrdD+3], 0, offen, offset:128 // store D
v_cmp_u_f32 s[52:53], v[vgprValuC+42], v[vgprValuC+42] // check Nan
v_bfe_u32 v6, v[vgprValuC+42], 16, 1               // Non-Nan case: store lsb of bf16
v_add3_u32 v6, v[vgprValuC+42], v6, v9             // Non-Nan case: add lsb and the increment for rounding
v_cndmask_b32 v[vgprValuC+42], v6, v8, s[52:53]    // 
v_lshrrev_b32 v[vgprValuC+42], 16, v[vgprValuC+42] // convert C to bf16
s_lshl_b32  s52, s[sgprStrideD1J], 1               // incToNextRow: Scale by BPE
	;; [unrolled: 21-line block ×3, first 2 shown]
s_add_u32  s[sgprSrdD+0], s[sgprSrdD+0], s52       // incToNextRow: gra SRD += inc(lower)
s_addc_u32  s[sgprSrdD+1], s[sgprSrdD+1], 0        // incToNextRow: gra SRD += inc(upper)
_buffer_store_b16 v45, v10, s[sgprSrdD:sgprSrdD+3], 0, offen, offset:0 // store D
v_cmp_u_f32 s[52:53], v[vgprValuC+46], v[vgprValuC+46] // check Nan
v_bfe_u32 v6, v[vgprValuC+46], 16, 1               // Non-Nan case: store lsb of bf16
v_add3_u32 v6, v[vgprValuC+46], v6, v9             // Non-Nan case: add lsb and the increment for rounding
v_cndmask_b32 v[vgprValuC+46], v6, v8, s[52:53]    // 
v_lshrrev_b32 v[vgprValuC+46], 16, v[vgprValuC+46] // convert C to bf16
_buffer_store_b16 v46, v10, s[sgprSrdD:sgprSrdD+3], 0, offen, offset:64 // store D
v_cmp_u_f32 s[52:53], v[vgprValuC+47], v[vgprValuC+47] // check Nan
v_bfe_u32 v6, v[vgprValuC+47], 16, 1               // Non-Nan case: store lsb of bf16
v_add3_u32 v6, v[vgprValuC+47], v6, v9             // Non-Nan case: add lsb and the increment for rounding
v_cndmask_b32 v[vgprValuC+47], v6, v8, s[52:53]    // 
v_lshrrev_b32 v[vgprValuC+47], 16, v[vgprValuC+47] // convert C to bf16
	;; [unrolled: 6-line block ×3, first 2 shown]
s_mul_i32 s52, s[sgprStrideD1J], 10                // scale StrideD *= numRows(5) * bpe
s_add_u32  s[sgprSrdD+0], s[sgprSrdD+0], s52       // incToNextRow: gra SRD += inc(lower)
s_addc_u32  s[sgprSrdD+1], s[sgprSrdD+1], 0        // incToNextRow: gra SRD += inc(upper)
_buffer_store_b16 v48, v10, s[sgprSrdD:sgprSrdD+3], 0, offen, offset:0 // store D
v_cmp_u_f32 s[52:53], v[vgprValuC+49], v[vgprValuC+49] // check Nan
v_bfe_u32 v6, v[vgprValuC+49], 16, 1               // Non-Nan case: store lsb of bf16
v_add3_u32 v6, v[vgprValuC+49], v6, v9             // Non-Nan case: add lsb and the increment for rounding
v_cndmask_b32 v[vgprValuC+49], v6, v8, s[52:53]    // 
v_lshrrev_b32 v[vgprValuC+49], 16, v[vgprValuC+49] // convert C to bf16
_buffer_store_b16 v49, v10, s[sgprSrdD:sgprSrdD+3], 0, offen, offset:64 // store D
v_cmp_u_f32 s[52:53], v[vgprValuC+50], v[vgprValuC+50] // check Nan
v_bfe_u32 v6, v[vgprValuC+50], 16, 1               // Non-Nan case: store lsb of bf16
v_add3_u32 v6, v[vgprValuC+50], v6, v9             // Non-Nan case: add lsb and the increment for rounding
v_cndmask_b32 v[vgprValuC+50], v6, v8, s[52:53]    // 
v_lshrrev_b32 v[vgprValuC+50], 16, v[vgprValuC+50] // convert C to bf16
_buffer_store_b16 v50, v10, s[sgprSrdD:sgprSrdD+3], 0, offen, offset:128 // store D
v_cmp_u_f32 s[52:53], v[vgprValuC+51], v[vgprValuC+51] // check Nan
v_bfe_u32 v6, v[vgprValuC+51], 16, 1               // Non-Nan case: store lsb of bf16
v_add3_u32 v6, v[vgprValuC+51], v6, v9             // Non-Nan case: add lsb and the increment for rounding
v_cndmask_b32 v[vgprValuC+51], v6, v8, s[52:53]    // 
v_lshrrev_b32 v[vgprValuC+51], 16, v[vgprValuC+51] // convert C to bf16
s_lshl_b32  s52, s[sgprStrideD1J], 1               // incToNextRow: Scale by BPE
s_add_u32  s[sgprSrdD+0], s[sgprSrdD+0], s52       // incToNextRow: gra SRD += inc(lower)
s_addc_u32  s[sgprSrdD+1], s[sgprSrdD+1], 0        // incToNextRow: gra SRD += inc(upper)
_buffer_store_b16 v51, v10, s[sgprSrdD:sgprSrdD+3], 0, offen, offset:0 // store D
v_cmp_u_f32 s[52:53], v[vgprValuC+52], v[vgprValuC+52] // check Nan
v_bfe_u32 v6, v[vgprValuC+52], 16, 1               // Non-Nan case: store lsb of bf16
v_add3_u32 v6, v[vgprValuC+52], v6, v9             // Non-Nan case: add lsb and the increment for rounding
v_cndmask_b32 v[vgprValuC+52], v6, v8, s[52:53]    // 
v_lshrrev_b32 v[vgprValuC+52], 16, v[vgprValuC+52] // convert C to bf16
_buffer_store_b16 v52, v10, s[sgprSrdD:sgprSrdD+3], 0, offen, offset:64 // store D
v_cmp_u_f32 s[52:53], v[vgprValuC+53], v[vgprValuC+53] // check Nan
v_bfe_u32 v6, v[vgprValuC+53], 16, 1               // Non-Nan case: store lsb of bf16
v_add3_u32 v6, v[vgprValuC+53], v6, v9             // Non-Nan case: add lsb and the increment for rounding
v_cndmask_b32 v[vgprValuC+53], v6, v8, s[52:53]    // 
v_lshrrev_b32 v[vgprValuC+53], 16, v[vgprValuC+53] // convert C to bf16
_buffer_store_b16 v53, v10, s[sgprSrdD:sgprSrdD+3], 0, offen, offset:128 // store D
v_cmp_u_f32 s[52:53], v[vgprValuC+54], v[vgprValuC+54] // check Nan
v_bfe_u32 v6, v[vgprValuC+54], 16, 1               // Non-Nan case: store lsb of bf16
v_add3_u32 v6, v[vgprValuC+54], v6, v9             // Non-Nan case: add lsb and the increment for rounding
v_cndmask_b32 v[vgprValuC+54], v6, v8, s[52:53]    // 
v_lshrrev_b32 v[vgprValuC+54], 16, v[vgprValuC+54] // convert C to bf16
s_lshl_b32  s52, s[sgprStrideD1J], 1               // incToNextRow: Scale by BPE
	;; [unrolled: 21-line block ×3, first 2 shown]
s_add_u32  s[sgprSrdD+0], s[sgprSrdD+0], s52       // incToNextRow: gra SRD += inc(lower)
s_addc_u32  s[sgprSrdD+1], s[sgprSrdD+1], 0        // incToNextRow: gra SRD += inc(upper)
_buffer_store_b16 v57, v10, s[sgprSrdD:sgprSrdD+3], 0, offen, offset:0 // store D
v_cmp_u_f32 s[52:53], v[vgprValuC+58], v[vgprValuC+58] // check Nan
v_bfe_u32 v6, v[vgprValuC+58], 16, 1               // Non-Nan case: store lsb of bf16
v_add3_u32 v6, v[vgprValuC+58], v6, v9             // Non-Nan case: add lsb and the increment for rounding
v_cndmask_b32 v[vgprValuC+58], v6, v8, s[52:53]    // 
v_lshrrev_b32 v[vgprValuC+58], 16, v[vgprValuC+58] // convert C to bf16
_buffer_store_b16 v58, v10, s[sgprSrdD:sgprSrdD+3], 0, offen, offset:64 // store D
v_cmp_u_f32 s[52:53], v[vgprValuC+59], v[vgprValuC+59] // check Nan
v_bfe_u32 v6, v[vgprValuC+59], 16, 1               // Non-Nan case: store lsb of bf16
v_add3_u32 v6, v[vgprValuC+59], v6, v9             // Non-Nan case: add lsb and the increment for rounding
v_cndmask_b32 v[vgprValuC+59], v6, v8, s[52:53]    // 
v_lshrrev_b32 v[vgprValuC+59], 16, v[vgprValuC+59] // convert C to bf16
_buffer_store_b16 v59, v10, s[sgprSrdD:sgprSrdD+3], 0, offen, offset:128 // store D
s_nop 0                                            // 1 wait state required when next inst writes vgprs held by previous dwordx4 store inst
s_branch label_GW_End_44                           // jump to end
GW_B0_E1_36:

/* edge=1, allocate 6 sgpr. perBatchTmpS=4 perBatchMaskS=2 perElementMaskS=0 elementsPerBatch=96 */
/* optSingleColVgpr=0 optSharedColVgpr=0 optSGPRUsage=BufferLoad_Edge_Mask optSrdIncForRow=0 */
s_sleep 3 // optimization: sync and wait
s_barrier

/******************************************/
/* Global Write Alpha Edge Batch #0 (d1,d0,vc1,vc0) = */
/*    (0,0,0,0:vw1); (0,1,0,0:vw1); (0,2,0,0:vw1); (0,0,1,0:vw1); (0,1,1,0:vw1); (0,2,1,0:vw1); (0,0,2,0:vw1); (0,1,2,0:vw1); (0,2,2,0:vw1); (0,0,3,0:vw1); (0,1,3,0:vw1); (0,2,3,0:vw1); (1,0,0,0:vw1); (1,1,0,0:vw1); (1,2,0,0:vw1); (1,0,1,0:vw1); (1,1,1,0:vw1); (1,2,1,0:vw1); (1,0,2,0:vw1); (1,1,2,0:vw1); (1,2,2,0:vw1); (1,0,3,0:vw1); (1,1,3,0:vw1); (1,2,3,0:vw1); (2,0,0,0:vw1); (2,1,0,0:vw1); (2,2,0,0:vw1); (2,0,1,0:vw1); (2,1,1,0:vw1); (2,2,1,0:vw1); (2,0,2,0:vw1); (2,1,2,0:vw1); (2,2,2,0:vw1); (2,0,3,0:vw1); (2,1,3,0:vw1); (2,2,3,0:vw1); (3,0,0,0:vw1); (3,1,0,0:vw1); (3,2,0,0:vw1); (3,0,1,0:vw1); (3,1,1,0:vw1); (3,2,1,0:vw1); (3,0,2,0:vw1); (3,1,2,0:vw1); (3,2,2,0:vw1); (3,0,3,0:vw1); (3,1,3,0:vw1); (3,2,3,0:vw1) */
/******************************************/

/* calc coords, apply mask, and issue loads (if necessary) */
/* (d1,vc1,d0,vc0)=(0,0,0,0) */
v_cmp_lt_u32 s[52:53], v0, s[sgprSizeI]            // coord0 < size0
v_cmp_lt_u32 s[56:57], v1, s[sgprSizeJ]            // coord1 < size1
s_and_b64 s[56:57], s[52:53], s[56:57]             // in0 && in1
_v_add_lshl_u32 v10, v3, v0, 0x1                   // scaleToBpe: accumulate d0 lower and *= bpe into Cin addr
v_cndmask_b32 v10, -1, v10, s[56:57]               // LDD clip if OOB. offset
/* (d1,vc1,d0,vc0)=(0,0,1,0) */
_v_add_co_u32 v4, vcc, v0, 32                      // coord0.1: coord0 += d0*sg0*VW + vc0
v_cmp_lt_u32 s[52:53], v4, s[sgprSizeI]            // coord0 < size0
v_cmp_lt_u32 s[56:57], v1, s[sgprSizeJ]            // coord1 < size1
s_and_b64 s[56:57], s[52:53], s[56:57]             // in0 && in1
_v_add_lshl_u32 v12, v3, v4, 0x1                   // scaleToBpe: accumulate d0 lower and *= bpe into Cin addr
v_cndmask_b32 v12, -1, v12, s[56:57]               // LDD clip if OOB. offset
/* (d1,vc1,d0,vc0)=(0,0,2,0) */
_v_add_co_u32 v4, vcc, v0, 64                      // coord0.1: coord0 += d0*sg0*VW + vc0
v_cmp_lt_u32 s[52:53], v4, s[sgprSizeI]            // coord0 < size0
v_cmp_lt_u32 s[56:57], v1, s[sgprSizeJ]            // coord1 < size1
s_and_b64 s[56:57], s[52:53], s[56:57]             // in0 && in1
_v_add_lshl_u32 v14, v3, v4, 0x1                   // scaleToBpe: accumulate d0 lower and *= bpe into Cin addr
v_cndmask_b32 v14, -1, v14, s[56:57]               // LDD clip if OOB. offset
/* (d1,vc1,d0,vc0)=(0,1,0,0) */
_v_add_co_u32 v1, vcc, v1, 1                       // coord1.1: coord1Vgpr += d1*sg1*VW + vc1

/* Fix for UseInitialStridesCD, emitAddressSetupCode */
_v_add_u32 v2, v2, s[sgprStrideC1J]                // ROWINC- Move cinRowPtr to next row
_v_add_u32 v3, v3, s[sgprStrideD1J]                // Move coutRowPtr to next row
v_cmp_lt_u32 s[52:53], v0, s[sgprSizeI]            // coord0 < size0
v_cmp_lt_u32 s[56:57], v1, s[sgprSizeJ]            // coord1 < size1
s_and_b64 s[56:57], s[52:53], s[56:57]             // in0 && in1
_v_add_lshl_u32 v16, v3, v0, 0x1                   // scaleToBpe: accumulate d0 lower and *= bpe into Cin addr
v_cndmask_b32 v16, -1, v16, s[56:57]               // LDD clip if OOB. offset
/* (d1,vc1,d0,vc0)=(0,1,1,0) */
_v_add_co_u32 v4, vcc, v0, 32                      // coord0.1: coord0 += d0*sg0*VW + vc0
v_cmp_lt_u32 s[52:53], v4, s[sgprSizeI]            // coord0 < size0
v_cmp_lt_u32 s[56:57], v1, s[sgprSizeJ]            // coord1 < size1
s_and_b64 s[56:57], s[52:53], s[56:57]             // in0 && in1
_v_add_lshl_u32 v18, v3, v4, 0x1                   // scaleToBpe: accumulate d0 lower and *= bpe into Cin addr
v_cndmask_b32 v18, -1, v18, s[56:57]               // LDD clip if OOB. offset
/* (d1,vc1,d0,vc0)=(0,1,2,0) */
_v_add_co_u32 v4, vcc, v0, 64                      // coord0.1: coord0 += d0*sg0*VW + vc0
v_cmp_lt_u32 s[52:53], v4, s[sgprSizeI]            // coord0 < size0
v_cmp_lt_u32 s[56:57], v1, s[sgprSizeJ]            // coord1 < size1
s_and_b64 s[56:57], s[52:53], s[56:57]             // in0 && in1
_v_add_lshl_u32 v20, v3, v4, 0x1                   // scaleToBpe: accumulate d0 lower and *= bpe into Cin addr
v_cndmask_b32 v20, -1, v20, s[56:57]               // LDD clip if OOB. offset
/* (d1,vc1,d0,vc0)=(0,2,0,0) */
_v_add_co_u32 v1, vcc, v1, 1                       // coord1.1: coord1Vgpr += d1*sg1*VW + vc1

/* Fix for UseInitialStridesCD, emitAddressSetupCode */
_v_add_u32 v2, v2, s[sgprStrideC1J]                // ROWINC- Move cinRowPtr to next row
_v_add_u32 v3, v3, s[sgprStrideD1J]                // Move coutRowPtr to next row
	;; [unrolled: 25-line block ×3, first 2 shown]
v_cmp_lt_u32 s[52:53], v0, s[sgprSizeI]            // coord0 < size0
v_cmp_lt_u32 s[56:57], v1, s[sgprSizeJ]            // coord1 < size1
s_and_b64 s[56:57], s[52:53], s[56:57]             // in0 && in1
_v_add_lshl_u32 v28, v3, v0, 0x1                   // scaleToBpe: accumulate d0 lower and *= bpe into Cin addr
v_cndmask_b32 v28, -1, v28, s[56:57]               // LDD clip if OOB. offset
/* (d1,vc1,d0,vc0)=(0,3,1,0) */
_v_add_co_u32 v4, vcc, v0, 32                      // coord0.1: coord0 += d0*sg0*VW + vc0
v_cmp_lt_u32 s[52:53], v4, s[sgprSizeI]            // coord0 < size0
v_cmp_lt_u32 s[56:57], v1, s[sgprSizeJ]            // coord1 < size1
s_and_b64 s[56:57], s[52:53], s[56:57]             // in0 && in1
_v_add_lshl_u32 v30, v3, v4, 0x1                   // scaleToBpe: accumulate d0 lower and *= bpe into Cin addr
v_cndmask_b32 v30, -1, v30, s[56:57]               // LDD clip if OOB. offset
/* (d1,vc1,d0,vc0)=(0,3,2,0) */
_v_add_co_u32 v4, vcc, v0, 64                      // coord0.1: coord0 += d0*sg0*VW + vc0
v_cmp_lt_u32 s[52:53], v4, s[sgprSizeI]            // coord0 < size0
v_cmp_lt_u32 s[56:57], v1, s[sgprSizeJ]            // coord1 < size1
s_and_b64 s[56:57], s[52:53], s[56:57]             // in0 && in1
_v_add_lshl_u32 v32, v3, v4, 0x1                   // scaleToBpe: accumulate d0 lower and *= bpe into Cin addr
v_cndmask_b32 v32, -1, v32, s[56:57]               // LDD clip if OOB. offset
/* (d1,vc1,d0,vc0)=(1,0,0,0) */
_v_add_co_u32 v1, vcc, v1, 5                       // coord1.1: coord1Vgpr += d1*sg1*VW + vc1

/* Fix for UseInitialStridesCD, emitAddressSetupCode */
s_mul_i32 s52, s[sgprStrideC1J], 5                 // scale stride
_v_add_u32 v2, v2, s52                             // ROWINC- Move cinRowPtr to next row
s_mul_i32 s52, s[sgprStrideD1J], 5                 // scale stride
_v_add_u32 v3, v3, s52                             // Move coutRowPtr to next row
v_cmp_lt_u32 s[52:53], v0, s[sgprSizeI]            // coord0 < size0
v_cmp_lt_u32 s[56:57], v1, s[sgprSizeJ]            // coord1 < size1
s_and_b64 s[56:57], s[52:53], s[56:57]             // in0 && in1
_v_add_lshl_u32 v34, v3, v0, 0x1                   // scaleToBpe: accumulate d0 lower and *= bpe into Cin addr
v_cndmask_b32 v34, -1, v34, s[56:57]               // LDD clip if OOB. offset
/* (d1,vc1,d0,vc0)=(1,0,1,0) */
_v_add_co_u32 v4, vcc, v0, 32                      // coord0.1: coord0 += d0*sg0*VW + vc0
v_cmp_lt_u32 s[52:53], v4, s[sgprSizeI]            // coord0 < size0
v_cmp_lt_u32 s[56:57], v1, s[sgprSizeJ]            // coord1 < size1
s_and_b64 s[56:57], s[52:53], s[56:57]             // in0 && in1
_v_add_lshl_u32 v36, v3, v4, 0x1                   // scaleToBpe: accumulate d0 lower and *= bpe into Cin addr
v_cndmask_b32 v36, -1, v36, s[56:57]               // LDD clip if OOB. offset
/* (d1,vc1,d0,vc0)=(1,0,2,0) */
_v_add_co_u32 v4, vcc, v0, 64                      // coord0.1: coord0 += d0*sg0*VW + vc0
v_cmp_lt_u32 s[52:53], v4, s[sgprSizeI]            // coord0 < size0
v_cmp_lt_u32 s[56:57], v1, s[sgprSizeJ]            // coord1 < size1
s_and_b64 s[56:57], s[52:53], s[56:57]             // in0 && in1
_v_add_lshl_u32 v38, v3, v4, 0x1                   // scaleToBpe: accumulate d0 lower and *= bpe into Cin addr
v_cndmask_b32 v38, -1, v38, s[56:57]               // LDD clip if OOB. offset
/* (d1,vc1,d0,vc0)=(1,1,0,0) */
_v_add_co_u32 v1, vcc, v1, 1                       // coord1.1: coord1Vgpr += d1*sg1*VW + vc1

/* Fix for UseInitialStridesCD, emitAddressSetupCode */
_v_add_u32 v2, v2, s[sgprStrideC1J]                // ROWINC- Move cinRowPtr to next row
_v_add_u32 v3, v3, s[sgprStrideD1J]                // Move coutRowPtr to next row
v_cmp_lt_u32 s[52:53], v0, s[sgprSizeI]            // coord0 < size0
v_cmp_lt_u32 s[56:57], v1, s[sgprSizeJ]            // coord1 < size1
s_and_b64 s[56:57], s[52:53], s[56:57]             // in0 && in1
_v_add_lshl_u32 v40, v3, v0, 0x1                   // scaleToBpe: accumulate d0 lower and *= bpe into Cin addr
v_cndmask_b32 v40, -1, v40, s[56:57]               // LDD clip if OOB. offset
/* (d1,vc1,d0,vc0)=(1,1,1,0) */
_v_add_co_u32 v4, vcc, v0, 32                      // coord0.1: coord0 += d0*sg0*VW + vc0
v_cmp_lt_u32 s[52:53], v4, s[sgprSizeI]            // coord0 < size0
v_cmp_lt_u32 s[56:57], v1, s[sgprSizeJ]            // coord1 < size1
s_and_b64 s[56:57], s[52:53], s[56:57]             // in0 && in1
_v_add_lshl_u32 v42, v3, v4, 0x1                   // scaleToBpe: accumulate d0 lower and *= bpe into Cin addr
v_cndmask_b32 v42, -1, v42, s[56:57]               // LDD clip if OOB. offset
/* (d1,vc1,d0,vc0)=(1,1,2,0) */
_v_add_co_u32 v4, vcc, v0, 64                      // coord0.1: coord0 += d0*sg0*VW + vc0
v_cmp_lt_u32 s[52:53], v4, s[sgprSizeI]            // coord0 < size0
v_cmp_lt_u32 s[56:57], v1, s[sgprSizeJ]            // coord1 < size1
s_and_b64 s[56:57], s[52:53], s[56:57]             // in0 && in1
_v_add_lshl_u32 v44, v3, v4, 0x1                   // scaleToBpe: accumulate d0 lower and *= bpe into Cin addr
v_cndmask_b32 v44, -1, v44, s[56:57]               // LDD clip if OOB. offset
/* (d1,vc1,d0,vc0)=(1,2,0,0) */
_v_add_co_u32 v1, vcc, v1, 1                       // coord1.1: coord1Vgpr += d1*sg1*VW + vc1

/* Fix for UseInitialStridesCD, emitAddressSetupCode */
_v_add_u32 v2, v2, s[sgprStrideC1J]                // ROWINC- Move cinRowPtr to next row
_v_add_u32 v3, v3, s[sgprStrideD1J]                // Move coutRowPtr to next row
	;; [unrolled: 25-line block ×3, first 2 shown]
v_cmp_lt_u32 s[52:53], v0, s[sgprSizeI]            // coord0 < size0
v_cmp_lt_u32 s[56:57], v1, s[sgprSizeJ]            // coord1 < size1
s_and_b64 s[56:57], s[52:53], s[56:57]             // in0 && in1
_v_add_lshl_u32 v52, v3, v0, 0x1                   // scaleToBpe: accumulate d0 lower and *= bpe into Cin addr
v_cndmask_b32 v52, -1, v52, s[56:57]               // LDD clip if OOB. offset
/* (d1,vc1,d0,vc0)=(1,3,1,0) */
_v_add_co_u32 v4, vcc, v0, 32                      // coord0.1: coord0 += d0*sg0*VW + vc0
v_cmp_lt_u32 s[52:53], v4, s[sgprSizeI]            // coord0 < size0
v_cmp_lt_u32 s[56:57], v1, s[sgprSizeJ]            // coord1 < size1
s_and_b64 s[56:57], s[52:53], s[56:57]             // in0 && in1
_v_add_lshl_u32 v54, v3, v4, 0x1                   // scaleToBpe: accumulate d0 lower and *= bpe into Cin addr
v_cndmask_b32 v54, -1, v54, s[56:57]               // LDD clip if OOB. offset
/* (d1,vc1,d0,vc0)=(1,3,2,0) */
_v_add_co_u32 v4, vcc, v0, 64                      // coord0.1: coord0 += d0*sg0*VW + vc0
v_cmp_lt_u32 s[52:53], v4, s[sgprSizeI]            // coord0 < size0
v_cmp_lt_u32 s[56:57], v1, s[sgprSizeJ]            // coord1 < size1
s_and_b64 s[56:57], s[52:53], s[56:57]             // in0 && in1
_v_add_lshl_u32 v56, v3, v4, 0x1                   // scaleToBpe: accumulate d0 lower and *= bpe into Cin addr
v_cndmask_b32 v56, -1, v56, s[56:57]               // LDD clip if OOB. offset
/* (d1,vc1,d0,vc0)=(2,0,0,0) */
_v_add_co_u32 v1, vcc, v1, 5                       // coord1.1: coord1Vgpr += d1*sg1*VW + vc1

/* Fix for UseInitialStridesCD, emitAddressSetupCode */
s_mul_i32 s52, s[sgprStrideC1J], 5                 // scale stride
_v_add_u32 v2, v2, s52                             // ROWINC- Move cinRowPtr to next row
s_mul_i32 s52, s[sgprStrideD1J], 5                 // scale stride
_v_add_u32 v3, v3, s52                             // Move coutRowPtr to next row
v_cmp_lt_u32 s[52:53], v0, s[sgprSizeI]            // coord0 < size0
v_cmp_lt_u32 s[56:57], v1, s[sgprSizeJ]            // coord1 < size1
s_and_b64 s[56:57], s[52:53], s[56:57]             // in0 && in1
_v_add_lshl_u32 v58, v3, v0, 0x1                   // scaleToBpe: accumulate d0 lower and *= bpe into Cin addr
v_cndmask_b32 v58, -1, v58, s[56:57]               // LDD clip if OOB. offset
/* (d1,vc1,d0,vc0)=(2,0,1,0) */
_v_add_co_u32 v4, vcc, v0, 32                      // coord0.1: coord0 += d0*sg0*VW + vc0
v_cmp_lt_u32 s[52:53], v4, s[sgprSizeI]            // coord0 < size0
v_cmp_lt_u32 s[56:57], v1, s[sgprSizeJ]            // coord1 < size1
s_and_b64 s[56:57], s[52:53], s[56:57]             // in0 && in1
_v_add_lshl_u32 v60, v3, v4, 0x1                   // scaleToBpe: accumulate d0 lower and *= bpe into Cin addr
v_cndmask_b32 v60, -1, v60, s[56:57]               // LDD clip if OOB. offset
/* (d1,vc1,d0,vc0)=(2,0,2,0) */
_v_add_co_u32 v4, vcc, v0, 64                      // coord0.1: coord0 += d0*sg0*VW + vc0
v_cmp_lt_u32 s[52:53], v4, s[sgprSizeI]            // coord0 < size0
v_cmp_lt_u32 s[56:57], v1, s[sgprSizeJ]            // coord1 < size1
s_and_b64 s[56:57], s[52:53], s[56:57]             // in0 && in1
_v_add_lshl_u32 v62, v3, v4, 0x1                   // scaleToBpe: accumulate d0 lower and *= bpe into Cin addr
v_cndmask_b32 v62, -1, v62, s[56:57]               // LDD clip if OOB. offset
/* (d1,vc1,d0,vc0)=(2,1,0,0) */
_v_add_co_u32 v1, vcc, v1, 1                       // coord1.1: coord1Vgpr += d1*sg1*VW + vc1

/* Fix for UseInitialStridesCD, emitAddressSetupCode */
_v_add_u32 v2, v2, s[sgprStrideC1J]                // ROWINC- Move cinRowPtr to next row
_v_add_u32 v3, v3, s[sgprStrideD1J]                // Move coutRowPtr to next row
v_cmp_lt_u32 s[52:53], v0, s[sgprSizeI]            // coord0 < size0
v_cmp_lt_u32 s[56:57], v1, s[sgprSizeJ]            // coord1 < size1
s_and_b64 s[56:57], s[52:53], s[56:57]             // in0 && in1
_v_add_lshl_u32 v64, v3, v0, 0x1                   // scaleToBpe: accumulate d0 lower and *= bpe into Cin addr
v_cndmask_b32 v64, -1, v64, s[56:57]               // LDD clip if OOB. offset
/* (d1,vc1,d0,vc0)=(2,1,1,0) */
_v_add_co_u32 v4, vcc, v0, 32                      // coord0.1: coord0 += d0*sg0*VW + vc0
v_cmp_lt_u32 s[52:53], v4, s[sgprSizeI]            // coord0 < size0
v_cmp_lt_u32 s[56:57], v1, s[sgprSizeJ]            // coord1 < size1
s_and_b64 s[56:57], s[52:53], s[56:57]             // in0 && in1
_v_add_lshl_u32 v66, v3, v4, 0x1                   // scaleToBpe: accumulate d0 lower and *= bpe into Cin addr
v_cndmask_b32 v66, -1, v66, s[56:57]               // LDD clip if OOB. offset
/* (d1,vc1,d0,vc0)=(2,1,2,0) */
_v_add_co_u32 v4, vcc, v0, 64                      // coord0.1: coord0 += d0*sg0*VW + vc0
v_cmp_lt_u32 s[52:53], v4, s[sgprSizeI]            // coord0 < size0
v_cmp_lt_u32 s[56:57], v1, s[sgprSizeJ]            // coord1 < size1
s_and_b64 s[56:57], s[52:53], s[56:57]             // in0 && in1
_v_add_lshl_u32 v68, v3, v4, 0x1                   // scaleToBpe: accumulate d0 lower and *= bpe into Cin addr
v_cndmask_b32 v68, -1, v68, s[56:57]               // LDD clip if OOB. offset
/* (d1,vc1,d0,vc0)=(2,2,0,0) */
_v_add_co_u32 v1, vcc, v1, 1                       // coord1.1: coord1Vgpr += d1*sg1*VW + vc1

/* Fix for UseInitialStridesCD, emitAddressSetupCode */
_v_add_u32 v2, v2, s[sgprStrideC1J]                // ROWINC- Move cinRowPtr to next row
_v_add_u32 v3, v3, s[sgprStrideD1J]                // Move coutRowPtr to next row
v_cmp_lt_u32 s[52:53], v0, s[sgprSizeI]            // coord0 < size0
v_cmp_lt_u32 s[56:57], v1, s[sgprSizeJ]            // coord1 < size1
s_and_b64 s[56:57], s[52:53], s[56:57]             // in0 && in1
_v_add_lshl_u32 v70, v3, v0, 0x1                   // scaleToBpe: accumulate d0 lower and *= bpe into Cin addr
v_cndmask_b32 v70, -1, v70, s[56:57]               // LDD clip if OOB. offset
/* (d1,vc1,d0,vc0)=(2,2,1,0) */
_v_add_co_u32 v4, vcc, v0, 32                      // coord0.1: coord0 += d0*sg0*VW + vc0
v_cmp_lt_u32 s[52:53], v4, s[sgprSizeI]            // coord0 < size0
v_cmp_lt_u32 s[56:57], v1, s[sgprSizeJ]            // coord1 < size1
s_and_b64 s[56:57], s[52:53], s[56:57]             // in0 && in1
_v_add_lshl_u32 v72, v3, v4, 0x1                   // scaleToBpe: accumulate d0 lower and *= bpe into Cin addr
v_cndmask_b32 v72, -1, v72, s[56:57]               // LDD clip if OOB. offset
/* (d1,vc1,d0,vc0)=(2,2,2,0) */
_v_add_co_u32 v4, vcc, v0, 64                      // coord0.1: coord0 += d0*sg0*VW + vc0
v_cmp_lt_u32 s[52:53], v4, s[sgprSizeI]            // coord0 < size0
v_cmp_lt_u32 s[56:57], v1, s[sgprSizeJ]            // coord1 < size1
s_and_b64 s[56:57], s[52:53], s[56:57]             // in0 && in1
_v_add_lshl_u32 v74, v3, v4, 0x1                   // scaleToBpe: accumulate d0 lower and *= bpe into Cin addr
v_cndmask_b32 v74, -1, v74, s[56:57]               // LDD clip if OOB. offset
/* (d1,vc1,d0,vc0)=(2,3,0,0) */
_v_add_co_u32 v1, vcc, v1, 1                       // coord1.1: coord1Vgpr += d1*sg1*VW + vc1

/* Fix for UseInitialStridesCD, emitAddressSetupCode */
_v_add_u32 v2, v2, s[sgprStrideC1J]                // ROWINC- Move cinRowPtr to next row
_v_add_u32 v3, v3, s[sgprStrideD1J]                // Move coutRowPtr to next row
v_cmp_lt_u32 s[52:53], v0, s[sgprSizeI]            // coord0 < size0
v_cmp_lt_u32 s[56:57], v1, s[sgprSizeJ]            // coord1 < size1
s_and_b64 s[56:57], s[52:53], s[56:57]             // in0 && in1
_v_add_lshl_u32 v76, v3, v0, 0x1                   // scaleToBpe: accumulate d0 lower and *= bpe into Cin addr
v_cndmask_b32 v76, -1, v76, s[56:57]               // LDD clip if OOB. offset
/* (d1,vc1,d0,vc0)=(2,3,1,0) */
_v_add_co_u32 v4, vcc, v0, 32                      // coord0.1: coord0 += d0*sg0*VW + vc0
v_cmp_lt_u32 s[52:53], v4, s[sgprSizeI]            // coord0 < size0
v_cmp_lt_u32 s[56:57], v1, s[sgprSizeJ]            // coord1 < size1
s_and_b64 s[56:57], s[52:53], s[56:57]             // in0 && in1
_v_add_lshl_u32 v78, v3, v4, 0x1                   // scaleToBpe: accumulate d0 lower and *= bpe into Cin addr
v_cndmask_b32 v78, -1, v78, s[56:57]               // LDD clip if OOB. offset
/* (d1,vc1,d0,vc0)=(2,3,2,0) */
_v_add_co_u32 v4, vcc, v0, 64                      // coord0.1: coord0 += d0*sg0*VW + vc0
v_cmp_lt_u32 s[52:53], v4, s[sgprSizeI]            // coord0 < size0
v_cmp_lt_u32 s[56:57], v1, s[sgprSizeJ]            // coord1 < size1
s_and_b64 s[56:57], s[52:53], s[56:57]             // in0 && in1
_v_add_lshl_u32 v80, v3, v4, 0x1                   // scaleToBpe: accumulate d0 lower and *= bpe into Cin addr
v_cndmask_b32 v80, -1, v80, s[56:57]               // LDD clip if OOB. offset
/* (d1,vc1,d0,vc0)=(3,0,0,0) */
_v_add_co_u32 v1, vcc, v1, 5                       // coord1.1: coord1Vgpr += d1*sg1*VW + vc1

/* Fix for UseInitialStridesCD, emitAddressSetupCode */
s_mul_i32 s52, s[sgprStrideC1J], 5                 // scale stride
_v_add_u32 v2, v2, s52                             // ROWINC- Move cinRowPtr to next row
s_mul_i32 s52, s[sgprStrideD1J], 5                 // scale stride
_v_add_u32 v3, v3, s52                             // Move coutRowPtr to next row
v_cmp_lt_u32 s[52:53], v0, s[sgprSizeI]            // coord0 < size0
v_cmp_lt_u32 s[56:57], v1, s[sgprSizeJ]            // coord1 < size1
s_and_b64 s[56:57], s[52:53], s[56:57]             // in0 && in1
_v_add_lshl_u32 v82, v3, v0, 0x1                   // scaleToBpe: accumulate d0 lower and *= bpe into Cin addr
v_cndmask_b32 v82, -1, v82, s[56:57]               // LDD clip if OOB. offset
/* (d1,vc1,d0,vc0)=(3,0,1,0) */
_v_add_co_u32 v4, vcc, v0, 32                      // coord0.1: coord0 += d0*sg0*VW + vc0
v_cmp_lt_u32 s[52:53], v4, s[sgprSizeI]            // coord0 < size0
v_cmp_lt_u32 s[56:57], v1, s[sgprSizeJ]            // coord1 < size1
s_and_b64 s[56:57], s[52:53], s[56:57]             // in0 && in1
_v_add_lshl_u32 v84, v3, v4, 0x1                   // scaleToBpe: accumulate d0 lower and *= bpe into Cin addr
v_cndmask_b32 v84, -1, v84, s[56:57]               // LDD clip if OOB. offset
/* (d1,vc1,d0,vc0)=(3,0,2,0) */
_v_add_co_u32 v4, vcc, v0, 64                      // coord0.1: coord0 += d0*sg0*VW + vc0
v_cmp_lt_u32 s[52:53], v4, s[sgprSizeI]            // coord0 < size0
v_cmp_lt_u32 s[56:57], v1, s[sgprSizeJ]            // coord1 < size1
s_and_b64 s[56:57], s[52:53], s[56:57]             // in0 && in1
_v_add_lshl_u32 v86, v3, v4, 0x1                   // scaleToBpe: accumulate d0 lower and *= bpe into Cin addr
v_cndmask_b32 v86, -1, v86, s[56:57]               // LDD clip if OOB. offset
/* (d1,vc1,d0,vc0)=(3,1,0,0) */
_v_add_co_u32 v1, vcc, v1, 1                       // coord1.1: coord1Vgpr += d1*sg1*VW + vc1

/* Fix for UseInitialStridesCD, emitAddressSetupCode */
_v_add_u32 v2, v2, s[sgprStrideC1J]                // ROWINC- Move cinRowPtr to next row
_v_add_u32 v3, v3, s[sgprStrideD1J]                // Move coutRowPtr to next row
v_cmp_lt_u32 s[52:53], v0, s[sgprSizeI]            // coord0 < size0
v_cmp_lt_u32 s[56:57], v1, s[sgprSizeJ]            // coord1 < size1
s_and_b64 s[56:57], s[52:53], s[56:57]             // in0 && in1
_v_add_lshl_u32 v88, v3, v0, 0x1                   // scaleToBpe: accumulate d0 lower and *= bpe into Cin addr
v_cndmask_b32 v88, -1, v88, s[56:57]               // LDD clip if OOB. offset
/* (d1,vc1,d0,vc0)=(3,1,1,0) */
_v_add_co_u32 v4, vcc, v0, 32                      // coord0.1: coord0 += d0*sg0*VW + vc0
v_cmp_lt_u32 s[52:53], v4, s[sgprSizeI]            // coord0 < size0
v_cmp_lt_u32 s[56:57], v1, s[sgprSizeJ]            // coord1 < size1
s_and_b64 s[56:57], s[52:53], s[56:57]             // in0 && in1
_v_add_lshl_u32 v90, v3, v4, 0x1                   // scaleToBpe: accumulate d0 lower and *= bpe into Cin addr
v_cndmask_b32 v90, -1, v90, s[56:57]               // LDD clip if OOB. offset
/* (d1,vc1,d0,vc0)=(3,1,2,0) */
_v_add_co_u32 v4, vcc, v0, 64                      // coord0.1: coord0 += d0*sg0*VW + vc0
v_cmp_lt_u32 s[52:53], v4, s[sgprSizeI]            // coord0 < size0
v_cmp_lt_u32 s[56:57], v1, s[sgprSizeJ]            // coord1 < size1
s_and_b64 s[56:57], s[52:53], s[56:57]             // in0 && in1
_v_add_lshl_u32 v92, v3, v4, 0x1                   // scaleToBpe: accumulate d0 lower and *= bpe into Cin addr
v_cndmask_b32 v92, -1, v92, s[56:57]               // LDD clip if OOB. offset
/* (d1,vc1,d0,vc0)=(3,2,0,0) */
_v_add_co_u32 v1, vcc, v1, 1                       // coord1.1: coord1Vgpr += d1*sg1*VW + vc1

/* Fix for UseInitialStridesCD, emitAddressSetupCode */
_v_add_u32 v2, v2, s[sgprStrideC1J]                // ROWINC- Move cinRowPtr to next row
_v_add_u32 v3, v3, s[sgprStrideD1J]                // Move coutRowPtr to next row
v_cmp_lt_u32 s[52:53], v0, s[sgprSizeI]            // coord0 < size0
v_cmp_lt_u32 s[56:57], v1, s[sgprSizeJ]            // coord1 < size1
s_and_b64 s[56:57], s[52:53], s[56:57]             // in0 && in1
_v_add_lshl_u32 v94, v3, v0, 0x1                   // scaleToBpe: accumulate d0 lower and *= bpe into Cin addr
v_cndmask_b32 v94, -1, v94, s[56:57]               // LDD clip if OOB. offset
/* (d1,vc1,d0,vc0)=(3,2,1,0) */
_v_add_co_u32 v4, vcc, v0, 32                      // coord0.1: coord0 += d0*sg0*VW + vc0
v_cmp_lt_u32 s[52:53], v4, s[sgprSizeI]            // coord0 < size0
v_cmp_lt_u32 s[56:57], v1, s[sgprSizeJ]            // coord1 < size1
s_and_b64 s[56:57], s[52:53], s[56:57]             // in0 && in1
_v_add_lshl_u32 v99, v3, v4, 0x1                   // scaleToBpe: accumulate d0 lower and *= bpe into Cin addr
v_cndmask_b32 v99, -1, v99, s[56:57]               // LDD clip if OOB. offset
/* (d1,vc1,d0,vc0)=(3,2,2,0) */
_v_add_co_u32 v4, vcc, v0, 64                      // coord0.1: coord0 += d0*sg0*VW + vc0
v_cmp_lt_u32 s[52:53], v4, s[sgprSizeI]            // coord0 < size0
v_cmp_lt_u32 s[56:57], v1, s[sgprSizeJ]            // coord1 < size1
s_and_b64 s[56:57], s[52:53], s[56:57]             // in0 && in1
_v_add_lshl_u32 v101, v3, v4, 0x1                  // scaleToBpe: accumulate d0 lower and *= bpe into Cin addr
v_cndmask_b32 v101, -1, v101, s[56:57]             // LDD clip if OOB. offset
/* (d1,vc1,d0,vc0)=(3,3,0,0) */
_v_add_co_u32 v1, vcc, v1, 1                       // coord1.1: coord1Vgpr += d1*sg1*VW + vc1

/* Fix for UseInitialStridesCD, emitAddressSetupCode */
_v_add_u32 v2, v2, s[sgprStrideC1J]                // ROWINC- Move cinRowPtr to next row
_v_add_u32 v3, v3, s[sgprStrideD1J]                // Move coutRowPtr to next row
v_cmp_lt_u32 s[52:53], v0, s[sgprSizeI]            // coord0 < size0
v_cmp_lt_u32 s[56:57], v1, s[sgprSizeJ]            // coord1 < size1
s_and_b64 s[56:57], s[52:53], s[56:57]             // in0 && in1
_v_add_lshl_u32 v103, v3, v0, 0x1                  // scaleToBpe: accumulate d0 lower and *= bpe into Cin addr
v_cndmask_b32 v103, -1, v103, s[56:57]             // LDD clip if OOB. offset
/* (d1,vc1,d0,vc0)=(3,3,1,0) */
_v_add_co_u32 v4, vcc, v0, 32                      // coord0.1: coord0 += d0*sg0*VW + vc0
v_cmp_lt_u32 s[52:53], v4, s[sgprSizeI]            // coord0 < size0
v_cmp_lt_u32 s[56:57], v1, s[sgprSizeJ]            // coord1 < size1
s_and_b64 s[56:57], s[52:53], s[56:57]             // in0 && in1
_v_add_lshl_u32 v105, v3, v4, 0x1                  // scaleToBpe: accumulate d0 lower and *= bpe into Cin addr
v_cndmask_b32 v105, -1, v105, s[56:57]             // LDD clip if OOB. offset
/* (d1,vc1,d0,vc0)=(3,3,2,0) */
_v_add_co_u32 v4, vcc, v0, 64                      // coord0.1: coord0 += d0*sg0*VW + vc0
v_cmp_lt_u32 s[52:53], v4, s[sgprSizeI]            // coord0 < size0
v_cmp_lt_u32 s[56:57], v1, s[sgprSizeJ]            // coord1 < size1
s_and_b64 s[56:57], s[52:53], s[56:57]             // in0 && in1
_v_add_lshl_u32 v107, v3, v4, 0x1                  // scaleToBpe: accumulate d0 lower and *= bpe into Cin addr
v_cndmask_b32 v107, -1, v107, s[56:57]             // LDD clip if OOB. offset
v_accvgpr_read_b32 v[vgprValuC+11], acc0 // copy acc to vreg[0]
v_accvgpr_read_b32 v[vgprValuC+13], acc16 // copy acc to vreg[1]
v_accvgpr_read_b32 v[vgprValuC+15], acc32 // copy acc to vreg[2]
v_accvgpr_read_b32 v[vgprValuC+17], acc1 // copy acc to vreg[3]
v_accvgpr_read_b32 v[vgprValuC+19], acc17 // copy acc to vreg[4]
v_accvgpr_read_b32 v[vgprValuC+21], acc33 // copy acc to vreg[5]
v_accvgpr_read_b32 v[vgprValuC+23], acc2 // copy acc to vreg[6]
v_accvgpr_read_b32 v[vgprValuC+25], acc18 // copy acc to vreg[7]
v_accvgpr_read_b32 v[vgprValuC+27], acc34 // copy acc to vreg[8]
v_accvgpr_read_b32 v[vgprValuC+29], acc3 // copy acc to vreg[9]
v_accvgpr_read_b32 v[vgprValuC+31], acc19 // copy acc to vreg[10]
v_accvgpr_read_b32 v[vgprValuC+33], acc35 // copy acc to vreg[11]
v_accvgpr_read_b32 v[vgprValuC+35], acc4 // copy acc to vreg[12]
v_accvgpr_read_b32 v[vgprValuC+37], acc20 // copy acc to vreg[13]
v_accvgpr_read_b32 v[vgprValuC+39], acc36 // copy acc to vreg[14]
v_accvgpr_read_b32 v[vgprValuC+41], acc5 // copy acc to vreg[15]
v_accvgpr_read_b32 v[vgprValuC+43], acc21 // copy acc to vreg[16]
v_accvgpr_read_b32 v[vgprValuC+45], acc37 // copy acc to vreg[17]
v_accvgpr_read_b32 v[vgprValuC+47], acc6 // copy acc to vreg[18]
v_accvgpr_read_b32 v[vgprValuC+49], acc22 // copy acc to vreg[19]
v_accvgpr_read_b32 v[vgprValuC+51], acc38 // copy acc to vreg[20]
v_accvgpr_read_b32 v[vgprValuC+53], acc7 // copy acc to vreg[21]
v_accvgpr_read_b32 v[vgprValuC+55], acc23 // copy acc to vreg[22]
v_accvgpr_read_b32 v[vgprValuC+57], acc39 // copy acc to vreg[23]
v_accvgpr_read_b32 v[vgprValuC+59], acc8 // copy acc to vreg[24]
v_accvgpr_read_b32 v[vgprValuC+61], acc24 // copy acc to vreg[25]
v_accvgpr_read_b32 v[vgprValuC+63], acc40 // copy acc to vreg[26]
v_accvgpr_read_b32 v[vgprValuC+65], acc9 // copy acc to vreg[27]
v_accvgpr_read_b32 v[vgprValuC+67], acc25 // copy acc to vreg[28]
v_accvgpr_read_b32 v[vgprValuC+69], acc41 // copy acc to vreg[29]
v_accvgpr_read_b32 v[vgprValuC+71], acc10 // copy acc to vreg[30]
v_accvgpr_read_b32 v[vgprValuC+73], acc26 // copy acc to vreg[31]
v_accvgpr_read_b32 v[vgprValuC+75], acc42 // copy acc to vreg[32]
v_accvgpr_read_b32 v[vgprValuC+77], acc11 // copy acc to vreg[33]
v_accvgpr_read_b32 v[vgprValuC+79], acc27 // copy acc to vreg[34]
v_accvgpr_read_b32 v[vgprValuC+81], acc43 // copy acc to vreg[35]
v_accvgpr_read_b32 v[vgprValuC+83], acc12 // copy acc to vreg[36]
v_accvgpr_read_b32 v[vgprValuC+85], acc28 // copy acc to vreg[37]
v_accvgpr_read_b32 v[vgprValuC+87], acc44 // copy acc to vreg[38]
v_accvgpr_read_b32 v[vgprValuC+89], acc13 // copy acc to vreg[39]
v_accvgpr_read_b32 v[vgprValuC+91], acc29 // copy acc to vreg[40]
v_accvgpr_read_b32 v[vgprValuC+93], acc45 // copy acc to vreg[41]
v_accvgpr_read_b32 v[vgprValuC+95], acc14 // copy acc to vreg[42]
v_accvgpr_read_b32 v[vgprValuC+100], acc30 // copy acc to vreg[43]
v_accvgpr_read_b32 v[vgprValuC+102], acc46 // copy acc to vreg[44]
v_accvgpr_read_b32 v[vgprValuC+104], acc15 // copy acc to vreg[45]
v_accvgpr_read_b32 v[vgprValuC+106], acc31 // copy acc to vreg[46]
v_accvgpr_read_b32 v[vgprValuC+108], acc47 // copy acc to vreg[47]
s_nop 1                                            // 2 wait states required before reading vgpr

/* rC *= alpha batchElements=[(0, 0, 0, 0), (0, 1, 0, 0), (0, 2, 0, 0), (0, 0, 1, 0), (0, 1, 1, 0), (0, 2, 1, 0), (0, 0, 2, 0), (0, 1, 2, 0), (0, 2, 2, 0), (0, 0, 3, 0), (0, 1, 3, 0), (0, 2, 3, 0), (1, 0, 0, 0), (1, 1, 0, 0), (1, 2, 0, 0), (1, 0, 1, 0), (1, 1, 1, 0), (1, 2, 1, 0), (1, 0, 2, 0), (1, 1, 2, 0), (1, 2, 2, 0), (1, 0, 3, 0), (1, 1, 3, 0), (1, 2, 3, 0), (2, 0, 0, 0), (2, 1, 0, 0), (2, 2, 0, 0), (2, 0, 1, 0), (2, 1, 1, 0), (2, 2, 1, 0), (2, 0, 2, 0), (2, 1, 2, 0), (2, 2, 2, 0), (2, 0, 3, 0), (2, 1, 3, 0), (2, 2, 3, 0), (3, 0, 0, 0), (3, 1, 0, 0), (3, 2, 0, 0), (3, 0, 1, 0), (3, 1, 1, 0), (3, 2, 1, 0), (3, 0, 2, 0), (3, 1, 2, 0), (3, 2, 2, 0), (3, 0, 3, 0), (3, 1, 3, 0), (3, 2, 3, 0)] */
v_mul_f32 v[vgprValuC+11], s[sgprAlpha], v[vgprValuC+11] // *= alpha
v_mul_f32 v[vgprValuC+13], s[sgprAlpha], v[vgprValuC+13] // *= alpha
	;; [unrolled: 1-line block ×48, first 2 shown]

/* apply mask, calc new C and issue writes */
v_mov_b32 v7, 0xffff0000                           // mask for pack two bfloat16 element to 32bit
v_mov_b32 v8, 0x7fff0000                           // fp32 Nan
v_mov_b32 v9, 0x7fff                               // rounding bias for bfloat16
v_cmp_u_f32 s[52:53], v[vgprValuC+11], v[vgprValuC+11] // check Nan
v_bfe_u32 v6, v[vgprValuC+11], 16, 1               // Non-Nan case: store lsb of bf16
v_add3_u32 v6, v[vgprValuC+11], v6, v9             // Non-Nan case: add lsb and the increment for rounding
v_cndmask_b32 v[vgprValuC+11], v6, v8, s[52:53]    // 
v_lshrrev_b32 v[vgprValuC+11], 16, v[vgprValuC+11] // convert C to bf16
_buffer_store_b16 v11, v10, s[sgprSrdD:sgprSrdD+3], 0, offen, offset:0 // store D
v_cmp_u_f32 s[52:53], v[vgprValuC+13], v[vgprValuC+13] // check Nan
v_bfe_u32 v6, v[vgprValuC+13], 16, 1               // Non-Nan case: store lsb of bf16
v_add3_u32 v6, v[vgprValuC+13], v6, v9             // Non-Nan case: add lsb and the increment for rounding
v_cndmask_b32 v[vgprValuC+13], v6, v8, s[52:53]    // 
v_lshrrev_b32 v[vgprValuC+13], 16, v[vgprValuC+13] // convert C to bf16
_buffer_store_b16 v13, v12, s[sgprSrdD:sgprSrdD+3], 0, offen, offset:0 // store D
	;; [unrolled: 6-line block ×43, first 2 shown]
v_cmp_u_f32 s[52:53], v[vgprValuC+100], v[vgprValuC+100] // check Nan
v_bfe_u32 v6, v[vgprValuC+100], 16, 1              // Non-Nan case: store lsb of bf16
v_add3_u32 v6, v[vgprValuC+100], v6, v9            // Non-Nan case: add lsb and the increment for rounding
v_cndmask_b32 v[vgprValuC+100], v6, v8, s[52:53]   // 
v_lshrrev_b32 v[vgprValuC+100], 16, v[vgprValuC+100] // convert C to bf16
_buffer_store_b16 v100, v99, s[sgprSrdD:sgprSrdD+3], 0, offen, offset:0 // store D
v_cmp_u_f32 s[52:53], v[vgprValuC+102], v[vgprValuC+102] // check Nan
v_bfe_u32 v6, v[vgprValuC+102], 16, 1              // Non-Nan case: store lsb of bf16
v_add3_u32 v6, v[vgprValuC+102], v6, v9            // Non-Nan case: add lsb and the increment for rounding
v_cndmask_b32 v[vgprValuC+102], v6, v8, s[52:53]   // 
v_lshrrev_b32 v[vgprValuC+102], 16, v[vgprValuC+102] // convert C to bf16
_buffer_store_b16 v102, v101, s[sgprSrdD:sgprSrdD+3], 0, offen, offset:0 // store D
	;; [unrolled: 6-line block ×5, first 2 shown]
s_nop 0                                            // 1 wait state required when next inst writes vgprs held by previous dwordx4 store inst
s_branch label_GW_End_44                           // jump to end
GW_Beta_45:
s_mov_b32 s55, 0x0                                 // STATIC_DIV: divisior=96
s_mul_i32 s54, 0x555, s[sgprSizeI]                 // tmp1 = dividend * magic hi
s_lshl_b64 s[54:55], s[54:55], 0x10                // left shift 16 bits
s_mul_i32 s53, s[sgprSizeI], 0x5556                // tmp0 = dividend * magic lo
s_add_u32 s54, s53, s54                            // add lo
s_addc_u32 s55, s55, 0x0                           // add hi
s_lshr_b64 s[54:55], s[54:55], 0x21                // tmp1 = (dividend * magic) << shift
s_mov_b32 s53, s54                                 // quotient
s_mul_i32 s54, s53, 0x60                           // quotient*divisor
s_sub_u32 s52, s[sgprSizeI], s54                   // rReg = dividend - quotient*divisor
s_add_u32 s53, -0x1, s[sgprNumWorkGroups0]         // 
s_cmp_ge_u32 s[sgprWorkGroup0], s53                // wg0 >= nwg0-1 ?
s_cselect_b32 s52, s52, 0                          // set rMT0
s_cmpk_gt_u32 s52, 0x0                             // rMT0 > 0
s_cbranch_scc1 GW_B1_E1_43                         // jump if edges required
s_and_b32 s52, 127, s[sgprSizeJ]                   // s52 = s[sgprSizeJ] % 128
s_add_u32 s53, -0x1, s[sgprNumWorkGroups1]         // 
s_cmp_ge_u32 s[sgprWorkGroup1], s53                // wg1 >= nwg1-1
s_cselect_b32 s52, s52, 0                          // set rMT1
s_cmpk_gt_u32 s52, 0x0                             // rMT1 > 0
s_cbranch_scc1 GW_B1_E1_43                         // jump if edges required
GW_B1_E0_40:

/* edge=0, allocate 2 sgpr. perBatchTmpS=2 perBatchMaskS=0 perElementMaskS=0 elementsPerBatch=96 */
/* optSingleColVgpr=1 optSharedColVgpr=0 optSGPRUsage=BufferLoad_Mask optSrdIncForRow=1 */
s_sleep 3 // optimization: sync and wait
s_barrier

/******************************************/
/* Global Write Alpha Beta Batch #0 (d1,d0,vc1,vc0) = */
/*    (0,0,0,0:vw1); (0,1,0,0:vw1); (0,2,0,0:vw1); (0,0,1,0:vw1); (0,1,1,0:vw1); (0,2,1,0:vw1); (0,0,2,0:vw1); (0,1,2,0:vw1); (0,2,2,0:vw1); (0,0,3,0:vw1); (0,1,3,0:vw1); (0,2,3,0:vw1); (1,0,0,0:vw1); (1,1,0,0:vw1); (1,2,0,0:vw1); (1,0,1,0:vw1); (1,1,1,0:vw1); (1,2,1,0:vw1); (1,0,2,0:vw1); (1,1,2,0:vw1); (1,2,2,0:vw1); (1,0,3,0:vw1); (1,1,3,0:vw1); (1,2,3,0:vw1); (2,0,0,0:vw1); (2,1,0,0:vw1); (2,2,0,0:vw1); (2,0,1,0:vw1); (2,1,1,0:vw1); (2,2,1,0:vw1); (2,0,2,0:vw1); (2,1,2,0:vw1); (2,2,2,0:vw1); (2,0,3,0:vw1); (2,1,3,0:vw1); (2,2,3,0:vw1); (3,0,0,0:vw1); (3,1,0,0:vw1); (3,2,0,0:vw1); (3,0,1,0:vw1); (3,1,1,0:vw1); (3,2,1,0:vw1); (3,0,2,0:vw1); (3,1,2,0:vw1); (3,2,2,0:vw1); (3,0,3,0:vw1); (3,1,3,0:vw1); (3,2,3,0:vw1) */
/******************************************/

/* calc coords, apply mask, and issue loads (if necessary) */
/* (d1,vc1,d0,vc0)=(0,0,0,0) */
_v_add_lshl_u32 v11, v2, v0, 0x1                   // optSingleColVgpr scaleToBpe: sharedAddrVgpr <- cinRowPtr + coord0, scaled by BPE. BSHERE:coord0=0, coord0Vgpr=0
_buffer_load_d16_b16 v12, v11, s[sgprSrdC:sgprSrdC+3], 0, offen offset:0 // load C for beta calc
/* (d1,vc1,d0,vc0)=(0,0,1,0) */
_buffer_load_d16_b16 v14, v11, s[sgprSrdC:sgprSrdC+3], 0, offen offset:64 // load C for beta calc
/* (d1,vc1,d0,vc0)=(0,0,2,0) */
_buffer_load_d16_b16 v16, v11, s[sgprSrdC:sgprSrdC+3], 0, offen offset:128 // load C for beta calc
/* (d1,vc1,d0,vc0)=(0,1,0,0) */
s_lshl_b32  s52, s[sgprStrideC1J], 1               // incToNextRow: Scale by BPE
s_add_u32  s[sgprSrdC+0], s[sgprSrdC+0], s52       // incToNextRow: gra SRD += inc(lower)
s_addc_u32  s[sgprSrdC+1], s[sgprSrdC+1], 0        // incToNextRow: gra SRD += inc(upper)
_buffer_load_d16_b16 v18, v11, s[sgprSrdC:sgprSrdC+3], 0, offen offset:0 // load C for beta calc
/* (d1,vc1,d0,vc0)=(0,1,1,0) */
_buffer_load_d16_b16 v20, v11, s[sgprSrdC:sgprSrdC+3], 0, offen offset:64 // load C for beta calc
/* (d1,vc1,d0,vc0)=(0,1,2,0) */
_buffer_load_d16_b16 v22, v11, s[sgprSrdC:sgprSrdC+3], 0, offen offset:128 // load C for beta calc
/* (d1,vc1,d0,vc0)=(0,2,0,0) */
s_lshl_b32  s52, s[sgprStrideC1J], 1               // incToNextRow: Scale by BPE
s_add_u32  s[sgprSrdC+0], s[sgprSrdC+0], s52       // incToNextRow: gra SRD += inc(lower)
s_addc_u32  s[sgprSrdC+1], s[sgprSrdC+1], 0        // incToNextRow: gra SRD += inc(upper)
_buffer_load_d16_b16 v24, v11, s[sgprSrdC:sgprSrdC+3], 0, offen offset:0 // load C for beta calc
/* (d1,vc1,d0,vc0)=(0,2,1,0) */
_buffer_load_d16_b16 v26, v11, s[sgprSrdC:sgprSrdC+3], 0, offen offset:64 // load C for beta calc
/* (d1,vc1,d0,vc0)=(0,2,2,0) */
_buffer_load_d16_b16 v28, v11, s[sgprSrdC:sgprSrdC+3], 0, offen offset:128 // load C for beta calc
/* (d1,vc1,d0,vc0)=(0,3,0,0) */
s_lshl_b32  s52, s[sgprStrideC1J], 1               // incToNextRow: Scale by BPE
s_add_u32  s[sgprSrdC+0], s[sgprSrdC+0], s52       // incToNextRow: gra SRD += inc(lower)
s_addc_u32  s[sgprSrdC+1], s[sgprSrdC+1], 0        // incToNextRow: gra SRD += inc(upper)
_buffer_load_d16_b16 v30, v11, s[sgprSrdC:sgprSrdC+3], 0, offen offset:0 // load C for beta calc
/* (d1,vc1,d0,vc0)=(0,3,1,0) */
_buffer_load_d16_b16 v32, v11, s[sgprSrdC:sgprSrdC+3], 0, offen offset:64 // load C for beta calc
/* (d1,vc1,d0,vc0)=(0,3,2,0) */
_buffer_load_d16_b16 v34, v11, s[sgprSrdC:sgprSrdC+3], 0, offen offset:128 // load C for beta calc
/* (d1,vc1,d0,vc0)=(1,0,0,0) */
s_mul_i32 s52, s[sgprStrideC1J], 10                // scale StrideC *= numRows(5) * bpe
s_add_u32  s[sgprSrdC+0], s[sgprSrdC+0], s52       // incToNextRow: gra SRD += inc(lower)
s_addc_u32  s[sgprSrdC+1], s[sgprSrdC+1], 0        // incToNextRow: gra SRD += inc(upper)
_buffer_load_d16_b16 v36, v11, s[sgprSrdC:sgprSrdC+3], 0, offen offset:0 // load C for beta calc
/* (d1,vc1,d0,vc0)=(1,0,1,0) */
_buffer_load_d16_b16 v38, v11, s[sgprSrdC:sgprSrdC+3], 0, offen offset:64 // load C for beta calc
/* (d1,vc1,d0,vc0)=(1,0,2,0) */
_buffer_load_d16_b16 v40, v11, s[sgprSrdC:sgprSrdC+3], 0, offen offset:128 // load C for beta calc
/* (d1,vc1,d0,vc0)=(1,1,0,0) */
s_lshl_b32  s52, s[sgprStrideC1J], 1               // incToNextRow: Scale by BPE
s_add_u32  s[sgprSrdC+0], s[sgprSrdC+0], s52       // incToNextRow: gra SRD += inc(lower)
s_addc_u32  s[sgprSrdC+1], s[sgprSrdC+1], 0        // incToNextRow: gra SRD += inc(upper)
_buffer_load_d16_b16 v42, v11, s[sgprSrdC:sgprSrdC+3], 0, offen offset:0 // load C for beta calc
/* (d1,vc1,d0,vc0)=(1,1,1,0) */
_buffer_load_d16_b16 v44, v11, s[sgprSrdC:sgprSrdC+3], 0, offen offset:64 // load C for beta calc
/* (d1,vc1,d0,vc0)=(1,1,2,0) */
_buffer_load_d16_b16 v46, v11, s[sgprSrdC:sgprSrdC+3], 0, offen offset:128 // load C for beta calc
/* (d1,vc1,d0,vc0)=(1,2,0,0) */
s_lshl_b32  s52, s[sgprStrideC1J], 1               // incToNextRow: Scale by BPE
s_add_u32  s[sgprSrdC+0], s[sgprSrdC+0], s52       // incToNextRow: gra SRD += inc(lower)
s_addc_u32  s[sgprSrdC+1], s[sgprSrdC+1], 0        // incToNextRow: gra SRD += inc(upper)
_buffer_load_d16_b16 v48, v11, s[sgprSrdC:sgprSrdC+3], 0, offen offset:0 // load C for beta calc
/* (d1,vc1,d0,vc0)=(1,2,1,0) */
_buffer_load_d16_b16 v50, v11, s[sgprSrdC:sgprSrdC+3], 0, offen offset:64 // load C for beta calc
/* (d1,vc1,d0,vc0)=(1,2,2,0) */
_buffer_load_d16_b16 v52, v11, s[sgprSrdC:sgprSrdC+3], 0, offen offset:128 // load C for beta calc
/* (d1,vc1,d0,vc0)=(1,3,0,0) */
s_lshl_b32  s52, s[sgprStrideC1J], 1               // incToNextRow: Scale by BPE
s_add_u32  s[sgprSrdC+0], s[sgprSrdC+0], s52       // incToNextRow: gra SRD += inc(lower)
s_addc_u32  s[sgprSrdC+1], s[sgprSrdC+1], 0        // incToNextRow: gra SRD += inc(upper)
_buffer_load_d16_b16 v54, v11, s[sgprSrdC:sgprSrdC+3], 0, offen offset:0 // load C for beta calc
/* (d1,vc1,d0,vc0)=(1,3,1,0) */
_buffer_load_d16_b16 v56, v11, s[sgprSrdC:sgprSrdC+3], 0, offen offset:64 // load C for beta calc
/* (d1,vc1,d0,vc0)=(1,3,2,0) */
_buffer_load_d16_b16 v58, v11, s[sgprSrdC:sgprSrdC+3], 0, offen offset:128 // load C for beta calc
/* (d1,vc1,d0,vc0)=(2,0,0,0) */
s_mul_i32 s52, s[sgprStrideC1J], 10                // scale StrideC *= numRows(5) * bpe
s_add_u32  s[sgprSrdC+0], s[sgprSrdC+0], s52       // incToNextRow: gra SRD += inc(lower)
s_addc_u32  s[sgprSrdC+1], s[sgprSrdC+1], 0        // incToNextRow: gra SRD += inc(upper)
	;; [unrolled: 36-line block ×3, first 2 shown]
_buffer_load_d16_b16 v84, v11, s[sgprSrdC:sgprSrdC+3], 0, offen offset:0 // load C for beta calc
/* (d1,vc1,d0,vc0)=(3,0,1,0) */
_buffer_load_d16_b16 v86, v11, s[sgprSrdC:sgprSrdC+3], 0, offen offset:64 // load C for beta calc
/* (d1,vc1,d0,vc0)=(3,0,2,0) */
_buffer_load_d16_b16 v88, v11, s[sgprSrdC:sgprSrdC+3], 0, offen offset:128 // load C for beta calc
/* (d1,vc1,d0,vc0)=(3,1,0,0) */
s_lshl_b32  s52, s[sgprStrideC1J], 1               // incToNextRow: Scale by BPE
s_add_u32  s[sgprSrdC+0], s[sgprSrdC+0], s52       // incToNextRow: gra SRD += inc(lower)
s_addc_u32  s[sgprSrdC+1], s[sgprSrdC+1], 0        // incToNextRow: gra SRD += inc(upper)
_buffer_load_d16_b16 v90, v11, s[sgprSrdC:sgprSrdC+3], 0, offen offset:0 // load C for beta calc
/* (d1,vc1,d0,vc0)=(3,1,1,0) */
_buffer_load_d16_b16 v92, v11, s[sgprSrdC:sgprSrdC+3], 0, offen offset:64 // load C for beta calc
/* (d1,vc1,d0,vc0)=(3,1,2,0) */
_buffer_load_d16_b16 v94, v11, s[sgprSrdC:sgprSrdC+3], 0, offen offset:128 // load C for beta calc
/* (d1,vc1,d0,vc0)=(3,2,0,0) */
s_lshl_b32  s52, s[sgprStrideC1J], 1               // incToNextRow: Scale by BPE
s_add_u32  s[sgprSrdC+0], s[sgprSrdC+0], s52       // incToNextRow: gra SRD += inc(lower)
s_addc_u32  s[sgprSrdC+1], s[sgprSrdC+1], 0        // incToNextRow: gra SRD += inc(upper)
	;; [unrolled: 9-line block ×3, first 2 shown]
_buffer_load_d16_b16 v105, v11, s[sgprSrdC:sgprSrdC+3], 0, offen offset:0 // load C for beta calc
/* (d1,vc1,d0,vc0)=(3,3,1,0) */
_buffer_load_d16_b16 v107, v11, s[sgprSrdC:sgprSrdC+3], 0, offen offset:64 // load C for beta calc
/* (d1,vc1,d0,vc0)=(3,3,2,0) */
_buffer_load_d16_b16 v109, v11, s[sgprSrdC:sgprSrdC+3], 0, offen offset:128 // load C for beta calc
_v_add_lshl_u32 v10, v3, v0, 0x1                   // optSingleColVgpr scaleToBpe: sharedAddrVgpr <- cinRowPtr + coord0, scaled by BPE. BSHERE:coord0=0, coord0Vgpr=0
s_sleep 3 // optimization: sync and wait
s_barrier
v_accvgpr_read_b32 v[vgprValuC+13], acc0 // copy acc to vreg[0]
v_accvgpr_read_b32 v[vgprValuC+15], acc16 // copy acc to vreg[1]
v_accvgpr_read_b32 v[vgprValuC+17], acc32 // copy acc to vreg[2]
v_accvgpr_read_b32 v[vgprValuC+19], acc1 // copy acc to vreg[3]
v_accvgpr_read_b32 v[vgprValuC+21], acc17 // copy acc to vreg[4]
v_accvgpr_read_b32 v[vgprValuC+23], acc33 // copy acc to vreg[5]
v_accvgpr_read_b32 v[vgprValuC+25], acc2 // copy acc to vreg[6]
v_accvgpr_read_b32 v[vgprValuC+27], acc18 // copy acc to vreg[7]
v_accvgpr_read_b32 v[vgprValuC+29], acc34 // copy acc to vreg[8]
v_accvgpr_read_b32 v[vgprValuC+31], acc3 // copy acc to vreg[9]
v_accvgpr_read_b32 v[vgprValuC+33], acc19 // copy acc to vreg[10]
v_accvgpr_read_b32 v[vgprValuC+35], acc35 // copy acc to vreg[11]
v_accvgpr_read_b32 v[vgprValuC+37], acc4 // copy acc to vreg[12]
v_accvgpr_read_b32 v[vgprValuC+39], acc20 // copy acc to vreg[13]
v_accvgpr_read_b32 v[vgprValuC+41], acc36 // copy acc to vreg[14]
v_accvgpr_read_b32 v[vgprValuC+43], acc5 // copy acc to vreg[15]
v_accvgpr_read_b32 v[vgprValuC+45], acc21 // copy acc to vreg[16]
v_accvgpr_read_b32 v[vgprValuC+47], acc37 // copy acc to vreg[17]
v_accvgpr_read_b32 v[vgprValuC+49], acc6 // copy acc to vreg[18]
v_accvgpr_read_b32 v[vgprValuC+51], acc22 // copy acc to vreg[19]
v_accvgpr_read_b32 v[vgprValuC+53], acc38 // copy acc to vreg[20]
v_accvgpr_read_b32 v[vgprValuC+55], acc7 // copy acc to vreg[21]
v_accvgpr_read_b32 v[vgprValuC+57], acc23 // copy acc to vreg[22]
v_accvgpr_read_b32 v[vgprValuC+59], acc39 // copy acc to vreg[23]
v_accvgpr_read_b32 v[vgprValuC+61], acc8 // copy acc to vreg[24]
v_accvgpr_read_b32 v[vgprValuC+63], acc24 // copy acc to vreg[25]
v_accvgpr_read_b32 v[vgprValuC+65], acc40 // copy acc to vreg[26]
v_accvgpr_read_b32 v[vgprValuC+67], acc9 // copy acc to vreg[27]
v_accvgpr_read_b32 v[vgprValuC+69], acc25 // copy acc to vreg[28]
v_accvgpr_read_b32 v[vgprValuC+71], acc41 // copy acc to vreg[29]
v_accvgpr_read_b32 v[vgprValuC+73], acc10 // copy acc to vreg[30]
v_accvgpr_read_b32 v[vgprValuC+75], acc26 // copy acc to vreg[31]
v_accvgpr_read_b32 v[vgprValuC+77], acc42 // copy acc to vreg[32]
v_accvgpr_read_b32 v[vgprValuC+79], acc11 // copy acc to vreg[33]
v_accvgpr_read_b32 v[vgprValuC+81], acc27 // copy acc to vreg[34]
v_accvgpr_read_b32 v[vgprValuC+83], acc43 // copy acc to vreg[35]
v_accvgpr_read_b32 v[vgprValuC+85], acc12 // copy acc to vreg[36]
v_accvgpr_read_b32 v[vgprValuC+87], acc28 // copy acc to vreg[37]
v_accvgpr_read_b32 v[vgprValuC+89], acc44 // copy acc to vreg[38]
v_accvgpr_read_b32 v[vgprValuC+91], acc13 // copy acc to vreg[39]
v_accvgpr_read_b32 v[vgprValuC+93], acc29 // copy acc to vreg[40]
v_accvgpr_read_b32 v[vgprValuC+95], acc45 // copy acc to vreg[41]
v_accvgpr_read_b32 v[vgprValuC+100], acc14 // copy acc to vreg[42]
v_accvgpr_read_b32 v[vgprValuC+102], acc30 // copy acc to vreg[43]
v_accvgpr_read_b32 v[vgprValuC+104], acc46 // copy acc to vreg[44]
v_accvgpr_read_b32 v[vgprValuC+106], acc15 // copy acc to vreg[45]
v_accvgpr_read_b32 v[vgprValuC+108], acc31 // copy acc to vreg[46]
v_accvgpr_read_b32 v[vgprValuC+110], acc47 // copy acc to vreg[47]
s_nop 1                                            // 2 wait states required before reading vgpr

/* rC *= alpha batchElements=[(0, 0, 0, 0), (0, 1, 0, 0), (0, 2, 0, 0), (0, 0, 1, 0), (0, 1, 1, 0), (0, 2, 1, 0), (0, 0, 2, 0), (0, 1, 2, 0), (0, 2, 2, 0), (0, 0, 3, 0), (0, 1, 3, 0), (0, 2, 3, 0), (1, 0, 0, 0), (1, 1, 0, 0), (1, 2, 0, 0), (1, 0, 1, 0), (1, 1, 1, 0), (1, 2, 1, 0), (1, 0, 2, 0), (1, 1, 2, 0), (1, 2, 2, 0), (1, 0, 3, 0), (1, 1, 3, 0), (1, 2, 3, 0), (2, 0, 0, 0), (2, 1, 0, 0), (2, 2, 0, 0), (2, 0, 1, 0), (2, 1, 1, 0), (2, 2, 1, 0), (2, 0, 2, 0), (2, 1, 2, 0), (2, 2, 2, 0), (2, 0, 3, 0), (2, 1, 3, 0), (2, 2, 3, 0), (3, 0, 0, 0), (3, 1, 0, 0), (3, 2, 0, 0), (3, 0, 1, 0), (3, 1, 1, 0), (3, 2, 1, 0), (3, 0, 2, 0), (3, 1, 2, 0), (3, 2, 2, 0), (3, 0, 3, 0), (3, 1, 3, 0), (3, 2, 3, 0)] */
v_mul_f32 v[vgprValuC+13], s[sgprAlpha], v[vgprValuC+13] // *= alpha
v_mul_f32 v[vgprValuC+15], s[sgprAlpha], v[vgprValuC+15] // *= alpha
v_mul_f32 v[vgprValuC+17], s[sgprAlpha], v[vgprValuC+17] // *= alpha
v_mul_f32 v[vgprValuC+19], s[sgprAlpha], v[vgprValuC+19] // *= alpha
v_mul_f32 v[vgprValuC+21], s[sgprAlpha], v[vgprValuC+21] // *= alpha
v_mul_f32 v[vgprValuC+23], s[sgprAlpha], v[vgprValuC+23] // *= alpha
v_mul_f32 v[vgprValuC+25], s[sgprAlpha], v[vgprValuC+25] // *= alpha
v_mul_f32 v[vgprValuC+27], s[sgprAlpha], v[vgprValuC+27] // *= alpha
v_mul_f32 v[vgprValuC+29], s[sgprAlpha], v[vgprValuC+29] // *= alpha
v_mul_f32 v[vgprValuC+31], s[sgprAlpha], v[vgprValuC+31] // *= alpha
v_mul_f32 v[vgprValuC+33], s[sgprAlpha], v[vgprValuC+33] // *= alpha
v_mul_f32 v[vgprValuC+35], s[sgprAlpha], v[vgprValuC+35] // *= alpha
v_mul_f32 v[vgprValuC+37], s[sgprAlpha], v[vgprValuC+37] // *= alpha
v_mul_f32 v[vgprValuC+39], s[sgprAlpha], v[vgprValuC+39] // *= alpha
v_mul_f32 v[vgprValuC+41], s[sgprAlpha], v[vgprValuC+41] // *= alpha
v_mul_f32 v[vgprValuC+43], s[sgprAlpha], v[vgprValuC+43] // *= alpha
v_mul_f32 v[vgprValuC+45], s[sgprAlpha], v[vgprValuC+45] // *= alpha
v_mul_f32 v[vgprValuC+47], s[sgprAlpha], v[vgprValuC+47] // *= alpha
v_mul_f32 v[vgprValuC+49], s[sgprAlpha], v[vgprValuC+49] // *= alpha
v_mul_f32 v[vgprValuC+51], s[sgprAlpha], v[vgprValuC+51] // *= alpha
v_mul_f32 v[vgprValuC+53], s[sgprAlpha], v[vgprValuC+53] // *= alpha
v_mul_f32 v[vgprValuC+55], s[sgprAlpha], v[vgprValuC+55] // *= alpha
v_mul_f32 v[vgprValuC+57], s[sgprAlpha], v[vgprValuC+57] // *= alpha
v_mul_f32 v[vgprValuC+59], s[sgprAlpha], v[vgprValuC+59] // *= alpha
v_mul_f32 v[vgprValuC+61], s[sgprAlpha], v[vgprValuC+61] // *= alpha
v_mul_f32 v[vgprValuC+63], s[sgprAlpha], v[vgprValuC+63] // *= alpha
v_mul_f32 v[vgprValuC+65], s[sgprAlpha], v[vgprValuC+65] // *= alpha
v_mul_f32 v[vgprValuC+67], s[sgprAlpha], v[vgprValuC+67] // *= alpha
v_mul_f32 v[vgprValuC+69], s[sgprAlpha], v[vgprValuC+69] // *= alpha
v_mul_f32 v[vgprValuC+71], s[sgprAlpha], v[vgprValuC+71] // *= alpha
v_mul_f32 v[vgprValuC+73], s[sgprAlpha], v[vgprValuC+73] // *= alpha
v_mul_f32 v[vgprValuC+75], s[sgprAlpha], v[vgprValuC+75] // *= alpha
v_mul_f32 v[vgprValuC+77], s[sgprAlpha], v[vgprValuC+77] // *= alpha
v_mul_f32 v[vgprValuC+79], s[sgprAlpha], v[vgprValuC+79] // *= alpha
v_mul_f32 v[vgprValuC+81], s[sgprAlpha], v[vgprValuC+81] // *= alpha
v_mul_f32 v[vgprValuC+83], s[sgprAlpha], v[vgprValuC+83] // *= alpha
v_mul_f32 v[vgprValuC+85], s[sgprAlpha], v[vgprValuC+85] // *= alpha
v_mul_f32 v[vgprValuC+87], s[sgprAlpha], v[vgprValuC+87] // *= alpha
v_mul_f32 v[vgprValuC+89], s[sgprAlpha], v[vgprValuC+89] // *= alpha
v_mul_f32 v[vgprValuC+91], s[sgprAlpha], v[vgprValuC+91] // *= alpha
v_mul_f32 v[vgprValuC+93], s[sgprAlpha], v[vgprValuC+93] // *= alpha
v_mul_f32 v[vgprValuC+95], s[sgprAlpha], v[vgprValuC+95] // *= alpha
v_mul_f32 v[vgprValuC+100], s[sgprAlpha], v[vgprValuC+100] // *= alpha
v_mul_f32 v[vgprValuC+102], s[sgprAlpha], v[vgprValuC+102] // *= alpha
v_mul_f32 v[vgprValuC+104], s[sgprAlpha], v[vgprValuC+104] // *= alpha
v_mul_f32 v[vgprValuC+106], s[sgprAlpha], v[vgprValuC+106] // *= alpha
v_mul_f32 v[vgprValuC+108], s[sgprAlpha], v[vgprValuC+108] // *= alpha
v_mul_f32 v[vgprValuC+110], s[sgprAlpha], v[vgprValuC+110] // *= alpha

/* apply mask, calc new C and issue writes */
v_mov_b32 v7, 0xffff0000                           // mask for pack two bfloat16 element to 32bit
v_mov_b32 v8, 0x7fff0000                           // fp32 Nan
v_mov_b32 v9, 0x7fff                               // rounding bias for bfloat16

s_waitcnt vmcnt(47)                                // wait C (interleaved) 47 = 48 - 0 + 0 - 1
v_lshlrev_b32 v4, 16, v12                          // convert bf16 to fp32
_v_mac_f32 v[vgprValuC+13], v4, s[sgprBeta]        // finalSum = sum*alpha + C*beta
v_cmp_u_f32 s[52:53], v[vgprValuC+13], v[vgprValuC+13] // check Nan
v_bfe_u32 v6, v[vgprValuC+13], 16, 1               // Non-Nan case: store lsb of bf16
v_add3_u32 v6, v[vgprValuC+13], v6, v9             // Non-Nan case: add lsb and the increment for rounding
v_cndmask_b32 v[vgprValuC+13], v6, v8, s[52:53]    // 
v_lshrrev_b32 v[vgprValuC+13], 16, v[vgprValuC+13] // convert C to bf16
_buffer_store_b16 v13, v10, s[sgprSrdD:sgprSrdD+3], 0, offen, offset:0 // store D

s_waitcnt vmcnt(47)                                // wait C (interleaved) 47 = 48 - 1 + 1 - 1
v_lshlrev_b32 v4, 16, v14                          // convert bf16 to fp32
_v_mac_f32 v[vgprValuC+15], v4, s[sgprBeta]        // finalSum = sum*alpha + C*beta
v_cmp_u_f32 s[52:53], v[vgprValuC+15], v[vgprValuC+15] // check Nan
v_bfe_u32 v6, v[vgprValuC+15], 16, 1               // Non-Nan case: store lsb of bf16
v_add3_u32 v6, v[vgprValuC+15], v6, v9             // Non-Nan case: add lsb and the increment for rounding
v_cndmask_b32 v[vgprValuC+15], v6, v8, s[52:53]    // 
v_lshrrev_b32 v[vgprValuC+15], 16, v[vgprValuC+15] // convert C to bf16
_buffer_store_b16 v15, v10, s[sgprSrdD:sgprSrdD+3], 0, offen, offset:64 // store D
	;; [unrolled: 10-line block ×3, first 2 shown]

s_waitcnt vmcnt(47)                                // wait C (interleaved) 47 = 48 - 3 + 3 - 1
v_lshlrev_b32 v4, 16, v18                          // convert bf16 to fp32
_v_mac_f32 v[vgprValuC+19], v4, s[sgprBeta]        // finalSum = sum*alpha + C*beta
v_cmp_u_f32 s[52:53], v[vgprValuC+19], v[vgprValuC+19] // check Nan
v_bfe_u32 v6, v[vgprValuC+19], 16, 1               // Non-Nan case: store lsb of bf16
v_add3_u32 v6, v[vgprValuC+19], v6, v9             // Non-Nan case: add lsb and the increment for rounding
v_cndmask_b32 v[vgprValuC+19], v6, v8, s[52:53]    // 
v_lshrrev_b32 v[vgprValuC+19], 16, v[vgprValuC+19] // convert C to bf16
s_lshl_b32  s52, s[sgprStrideD1J], 1               // incToNextRow: Scale by BPE
s_add_u32  s[sgprSrdD+0], s[sgprSrdD+0], s52       // incToNextRow: gra SRD += inc(lower)
s_addc_u32  s[sgprSrdD+1], s[sgprSrdD+1], 0        // incToNextRow: gra SRD += inc(upper)
_buffer_store_b16 v19, v10, s[sgprSrdD:sgprSrdD+3], 0, offen, offset:0 // store D

s_waitcnt vmcnt(47)                                // wait C (interleaved) 47 = 48 - 4 + 4 - 1
v_lshlrev_b32 v4, 16, v20                          // convert bf16 to fp32
_v_mac_f32 v[vgprValuC+21], v4, s[sgprBeta]        // finalSum = sum*alpha + C*beta
v_cmp_u_f32 s[52:53], v[vgprValuC+21], v[vgprValuC+21] // check Nan
v_bfe_u32 v6, v[vgprValuC+21], 16, 1               // Non-Nan case: store lsb of bf16
v_add3_u32 v6, v[vgprValuC+21], v6, v9             // Non-Nan case: add lsb and the increment for rounding
v_cndmask_b32 v[vgprValuC+21], v6, v8, s[52:53]    // 
v_lshrrev_b32 v[vgprValuC+21], 16, v[vgprValuC+21] // convert C to bf16
_buffer_store_b16 v21, v10, s[sgprSrdD:sgprSrdD+3], 0, offen, offset:64 // store D

s_waitcnt vmcnt(47)                                // wait C (interleaved) 47 = 48 - 5 + 5 - 1
v_lshlrev_b32 v4, 16, v22                          // convert bf16 to fp32
_v_mac_f32 v[vgprValuC+23], v4, s[sgprBeta]        // finalSum = sum*alpha + C*beta
v_cmp_u_f32 s[52:53], v[vgprValuC+23], v[vgprValuC+23] // check Nan
v_bfe_u32 v6, v[vgprValuC+23], 16, 1               // Non-Nan case: store lsb of bf16
v_add3_u32 v6, v[vgprValuC+23], v6, v9             // Non-Nan case: add lsb and the increment for rounding
v_cndmask_b32 v[vgprValuC+23], v6, v8, s[52:53]    // 
v_lshrrev_b32 v[vgprValuC+23], 16, v[vgprValuC+23] // convert C to bf16
_buffer_store_b16 v23, v10, s[sgprSrdD:sgprSrdD+3], 0, offen, offset:128 // store D

s_waitcnt vmcnt(47)                                // wait C (interleaved) 47 = 48 - 6 + 6 - 1
v_lshlrev_b32 v4, 16, v24                          // convert bf16 to fp32
_v_mac_f32 v[vgprValuC+25], v4, s[sgprBeta]        // finalSum = sum*alpha + C*beta
v_cmp_u_f32 s[52:53], v[vgprValuC+25], v[vgprValuC+25] // check Nan
v_bfe_u32 v6, v[vgprValuC+25], 16, 1               // Non-Nan case: store lsb of bf16
v_add3_u32 v6, v[vgprValuC+25], v6, v9             // Non-Nan case: add lsb and the increment for rounding
v_cndmask_b32 v[vgprValuC+25], v6, v8, s[52:53]    // 
v_lshrrev_b32 v[vgprValuC+25], 16, v[vgprValuC+25] // convert C to bf16
s_lshl_b32  s52, s[sgprStrideD1J], 1               // incToNextRow: Scale by BPE
s_add_u32  s[sgprSrdD+0], s[sgprSrdD+0], s52       // incToNextRow: gra SRD += inc(lower)
s_addc_u32  s[sgprSrdD+1], s[sgprSrdD+1], 0        // incToNextRow: gra SRD += inc(upper)
_buffer_store_b16 v25, v10, s[sgprSrdD:sgprSrdD+3], 0, offen, offset:0 // store D

s_waitcnt vmcnt(47)                                // wait C (interleaved) 47 = 48 - 7 + 7 - 1
v_lshlrev_b32 v4, 16, v26                          // convert bf16 to fp32
_v_mac_f32 v[vgprValuC+27], v4, s[sgprBeta]        // finalSum = sum*alpha + C*beta
v_cmp_u_f32 s[52:53], v[vgprValuC+27], v[vgprValuC+27] // check Nan
v_bfe_u32 v6, v[vgprValuC+27], 16, 1               // Non-Nan case: store lsb of bf16
v_add3_u32 v6, v[vgprValuC+27], v6, v9             // Non-Nan case: add lsb and the increment for rounding
v_cndmask_b32 v[vgprValuC+27], v6, v8, s[52:53]    // 
v_lshrrev_b32 v[vgprValuC+27], 16, v[vgprValuC+27] // convert C to bf16
_buffer_store_b16 v27, v10, s[sgprSrdD:sgprSrdD+3], 0, offen, offset:64 // store D

s_waitcnt vmcnt(47)                                // wait C (interleaved) 47 = 48 - 8 + 8 - 1
v_lshlrev_b32 v4, 16, v28                          // convert bf16 to fp32
_v_mac_f32 v[vgprValuC+29], v4, s[sgprBeta]        // finalSum = sum*alpha + C*beta
v_cmp_u_f32 s[52:53], v[vgprValuC+29], v[vgprValuC+29] // check Nan
v_bfe_u32 v6, v[vgprValuC+29], 16, 1               // Non-Nan case: store lsb of bf16
v_add3_u32 v6, v[vgprValuC+29], v6, v9             // Non-Nan case: add lsb and the increment for rounding
v_cndmask_b32 v[vgprValuC+29], v6, v8, s[52:53]    // 
v_lshrrev_b32 v[vgprValuC+29], 16, v[vgprValuC+29] // convert C to bf16
_buffer_store_b16 v29, v10, s[sgprSrdD:sgprSrdD+3], 0, offen, offset:128 // store D
	;; [unrolled: 33-line block ×3, first 2 shown]

s_waitcnt vmcnt(47)                                // wait C (interleaved) 47 = 48 - 12 + 12 - 1
v_lshlrev_b32 v4, 16, v36                          // convert bf16 to fp32
_v_mac_f32 v[vgprValuC+37], v4, s[sgprBeta]        // finalSum = sum*alpha + C*beta
v_cmp_u_f32 s[52:53], v[vgprValuC+37], v[vgprValuC+37] // check Nan
v_bfe_u32 v6, v[vgprValuC+37], 16, 1               // Non-Nan case: store lsb of bf16
v_add3_u32 v6, v[vgprValuC+37], v6, v9             // Non-Nan case: add lsb and the increment for rounding
v_cndmask_b32 v[vgprValuC+37], v6, v8, s[52:53]    // 
v_lshrrev_b32 v[vgprValuC+37], 16, v[vgprValuC+37] // convert C to bf16
s_mul_i32 s52, s[sgprStrideD1J], 10                // scale StrideD *= numRows(5) * bpe
s_add_u32  s[sgprSrdD+0], s[sgprSrdD+0], s52       // incToNextRow: gra SRD += inc(lower)
s_addc_u32  s[sgprSrdD+1], s[sgprSrdD+1], 0        // incToNextRow: gra SRD += inc(upper)
_buffer_store_b16 v37, v10, s[sgprSrdD:sgprSrdD+3], 0, offen, offset:0 // store D

s_waitcnt vmcnt(47)                                // wait C (interleaved) 47 = 48 - 13 + 13 - 1
v_lshlrev_b32 v4, 16, v38                          // convert bf16 to fp32
_v_mac_f32 v[vgprValuC+39], v4, s[sgprBeta]        // finalSum = sum*alpha + C*beta
v_cmp_u_f32 s[52:53], v[vgprValuC+39], v[vgprValuC+39] // check Nan
v_bfe_u32 v6, v[vgprValuC+39], 16, 1               // Non-Nan case: store lsb of bf16
v_add3_u32 v6, v[vgprValuC+39], v6, v9             // Non-Nan case: add lsb and the increment for rounding
v_cndmask_b32 v[vgprValuC+39], v6, v8, s[52:53]    // 
v_lshrrev_b32 v[vgprValuC+39], 16, v[vgprValuC+39] // convert C to bf16
_buffer_store_b16 v39, v10, s[sgprSrdD:sgprSrdD+3], 0, offen, offset:64 // store D

s_waitcnt vmcnt(47)                                // wait C (interleaved) 47 = 48 - 14 + 14 - 1
v_lshlrev_b32 v4, 16, v40                          // convert bf16 to fp32
_v_mac_f32 v[vgprValuC+41], v4, s[sgprBeta]        // finalSum = sum*alpha + C*beta
v_cmp_u_f32 s[52:53], v[vgprValuC+41], v[vgprValuC+41] // check Nan
v_bfe_u32 v6, v[vgprValuC+41], 16, 1               // Non-Nan case: store lsb of bf16
v_add3_u32 v6, v[vgprValuC+41], v6, v9             // Non-Nan case: add lsb and the increment for rounding
v_cndmask_b32 v[vgprValuC+41], v6, v8, s[52:53]    // 
v_lshrrev_b32 v[vgprValuC+41], 16, v[vgprValuC+41] // convert C to bf16
_buffer_store_b16 v41, v10, s[sgprSrdD:sgprSrdD+3], 0, offen, offset:128 // store D

s_waitcnt vmcnt(47)                                // wait C (interleaved) 47 = 48 - 15 + 15 - 1
v_lshlrev_b32 v4, 16, v42                          // convert bf16 to fp32
_v_mac_f32 v[vgprValuC+43], v4, s[sgprBeta]        // finalSum = sum*alpha + C*beta
v_cmp_u_f32 s[52:53], v[vgprValuC+43], v[vgprValuC+43] // check Nan
v_bfe_u32 v6, v[vgprValuC+43], 16, 1               // Non-Nan case: store lsb of bf16
v_add3_u32 v6, v[vgprValuC+43], v6, v9             // Non-Nan case: add lsb and the increment for rounding
v_cndmask_b32 v[vgprValuC+43], v6, v8, s[52:53]    // 
v_lshrrev_b32 v[vgprValuC+43], 16, v[vgprValuC+43] // convert C to bf16
s_lshl_b32  s52, s[sgprStrideD1J], 1               // incToNextRow: Scale by BPE
s_add_u32  s[sgprSrdD+0], s[sgprSrdD+0], s52       // incToNextRow: gra SRD += inc(lower)
s_addc_u32  s[sgprSrdD+1], s[sgprSrdD+1], 0        // incToNextRow: gra SRD += inc(upper)
_buffer_store_b16 v43, v10, s[sgprSrdD:sgprSrdD+3], 0, offen, offset:0 // store D

s_waitcnt vmcnt(47)                                // wait C (interleaved) 47 = 48 - 16 + 16 - 1
v_lshlrev_b32 v4, 16, v44                          // convert bf16 to fp32
_v_mac_f32 v[vgprValuC+45], v4, s[sgprBeta]        // finalSum = sum*alpha + C*beta
v_cmp_u_f32 s[52:53], v[vgprValuC+45], v[vgprValuC+45] // check Nan
v_bfe_u32 v6, v[vgprValuC+45], 16, 1               // Non-Nan case: store lsb of bf16
v_add3_u32 v6, v[vgprValuC+45], v6, v9             // Non-Nan case: add lsb and the increment for rounding
v_cndmask_b32 v[vgprValuC+45], v6, v8, s[52:53]    // 
v_lshrrev_b32 v[vgprValuC+45], 16, v[vgprValuC+45] // convert C to bf16
_buffer_store_b16 v45, v10, s[sgprSrdD:sgprSrdD+3], 0, offen, offset:64 // store D

s_waitcnt vmcnt(47)                                // wait C (interleaved) 47 = 48 - 17 + 17 - 1
v_lshlrev_b32 v4, 16, v46                          // convert bf16 to fp32
_v_mac_f32 v[vgprValuC+47], v4, s[sgprBeta]        // finalSum = sum*alpha + C*beta
v_cmp_u_f32 s[52:53], v[vgprValuC+47], v[vgprValuC+47] // check Nan
v_bfe_u32 v6, v[vgprValuC+47], 16, 1               // Non-Nan case: store lsb of bf16
v_add3_u32 v6, v[vgprValuC+47], v6, v9             // Non-Nan case: add lsb and the increment for rounding
v_cndmask_b32 v[vgprValuC+47], v6, v8, s[52:53]    // 
v_lshrrev_b32 v[vgprValuC+47], 16, v[vgprValuC+47] // convert C to bf16
_buffer_store_b16 v47, v10, s[sgprSrdD:sgprSrdD+3], 0, offen, offset:128 // store D

s_waitcnt vmcnt(47)                                // wait C (interleaved) 47 = 48 - 18 + 18 - 1
v_lshlrev_b32 v4, 16, v48                          // convert bf16 to fp32
_v_mac_f32 v[vgprValuC+49], v4, s[sgprBeta]        // finalSum = sum*alpha + C*beta
v_cmp_u_f32 s[52:53], v[vgprValuC+49], v[vgprValuC+49] // check Nan
v_bfe_u32 v6, v[vgprValuC+49], 16, 1               // Non-Nan case: store lsb of bf16
v_add3_u32 v6, v[vgprValuC+49], v6, v9             // Non-Nan case: add lsb and the increment for rounding
v_cndmask_b32 v[vgprValuC+49], v6, v8, s[52:53]    // 
v_lshrrev_b32 v[vgprValuC+49], 16, v[vgprValuC+49] // convert C to bf16
s_lshl_b32  s52, s[sgprStrideD1J], 1               // incToNextRow: Scale by BPE
	;; [unrolled: 33-line block ×3, first 2 shown]
s_add_u32  s[sgprSrdD+0], s[sgprSrdD+0], s52       // incToNextRow: gra SRD += inc(lower)
s_addc_u32  s[sgprSrdD+1], s[sgprSrdD+1], 0        // incToNextRow: gra SRD += inc(upper)
_buffer_store_b16 v55, v10, s[sgprSrdD:sgprSrdD+3], 0, offen, offset:0 // store D

s_waitcnt vmcnt(47)                                // wait C (interleaved) 47 = 48 - 22 + 22 - 1
v_lshlrev_b32 v4, 16, v56                          // convert bf16 to fp32
_v_mac_f32 v[vgprValuC+57], v4, s[sgprBeta]        // finalSum = sum*alpha + C*beta
v_cmp_u_f32 s[52:53], v[vgprValuC+57], v[vgprValuC+57] // check Nan
v_bfe_u32 v6, v[vgprValuC+57], 16, 1               // Non-Nan case: store lsb of bf16
v_add3_u32 v6, v[vgprValuC+57], v6, v9             // Non-Nan case: add lsb and the increment for rounding
v_cndmask_b32 v[vgprValuC+57], v6, v8, s[52:53]    // 
v_lshrrev_b32 v[vgprValuC+57], 16, v[vgprValuC+57] // convert C to bf16
_buffer_store_b16 v57, v10, s[sgprSrdD:sgprSrdD+3], 0, offen, offset:64 // store D

s_waitcnt vmcnt(47)                                // wait C (interleaved) 47 = 48 - 23 + 23 - 1
v_lshlrev_b32 v4, 16, v58                          // convert bf16 to fp32
_v_mac_f32 v[vgprValuC+59], v4, s[sgprBeta]        // finalSum = sum*alpha + C*beta
v_cmp_u_f32 s[52:53], v[vgprValuC+59], v[vgprValuC+59] // check Nan
v_bfe_u32 v6, v[vgprValuC+59], 16, 1               // Non-Nan case: store lsb of bf16
v_add3_u32 v6, v[vgprValuC+59], v6, v9             // Non-Nan case: add lsb and the increment for rounding
v_cndmask_b32 v[vgprValuC+59], v6, v8, s[52:53]    // 
v_lshrrev_b32 v[vgprValuC+59], 16, v[vgprValuC+59] // convert C to bf16
	;; [unrolled: 10-line block ×3, first 2 shown]
s_mul_i32 s52, s[sgprStrideD1J], 10                // scale StrideD *= numRows(5) * bpe
s_add_u32  s[sgprSrdD+0], s[sgprSrdD+0], s52       // incToNextRow: gra SRD += inc(lower)
s_addc_u32  s[sgprSrdD+1], s[sgprSrdD+1], 0        // incToNextRow: gra SRD += inc(upper)
_buffer_store_b16 v61, v10, s[sgprSrdD:sgprSrdD+3], 0, offen, offset:0 // store D

s_waitcnt vmcnt(47)                                // wait C (interleaved) 47 = 48 - 25 + 25 - 1
v_lshlrev_b32 v4, 16, v62                          // convert bf16 to fp32
_v_mac_f32 v[vgprValuC+63], v4, s[sgprBeta]        // finalSum = sum*alpha + C*beta
v_cmp_u_f32 s[52:53], v[vgprValuC+63], v[vgprValuC+63] // check Nan
v_bfe_u32 v6, v[vgprValuC+63], 16, 1               // Non-Nan case: store lsb of bf16
v_add3_u32 v6, v[vgprValuC+63], v6, v9             // Non-Nan case: add lsb and the increment for rounding
v_cndmask_b32 v[vgprValuC+63], v6, v8, s[52:53]    // 
v_lshrrev_b32 v[vgprValuC+63], 16, v[vgprValuC+63] // convert C to bf16
_buffer_store_b16 v63, v10, s[sgprSrdD:sgprSrdD+3], 0, offen, offset:64 // store D

s_waitcnt vmcnt(47)                                // wait C (interleaved) 47 = 48 - 26 + 26 - 1
v_lshlrev_b32 v4, 16, v64                          // convert bf16 to fp32
_v_mac_f32 v[vgprValuC+65], v4, s[sgprBeta]        // finalSum = sum*alpha + C*beta
v_cmp_u_f32 s[52:53], v[vgprValuC+65], v[vgprValuC+65] // check Nan
v_bfe_u32 v6, v[vgprValuC+65], 16, 1               // Non-Nan case: store lsb of bf16
v_add3_u32 v6, v[vgprValuC+65], v6, v9             // Non-Nan case: add lsb and the increment for rounding
v_cndmask_b32 v[vgprValuC+65], v6, v8, s[52:53]    // 
v_lshrrev_b32 v[vgprValuC+65], 16, v[vgprValuC+65] // convert C to bf16
_buffer_store_b16 v65, v10, s[sgprSrdD:sgprSrdD+3], 0, offen, offset:128 // store D

s_waitcnt vmcnt(47)                                // wait C (interleaved) 47 = 48 - 27 + 27 - 1
v_lshlrev_b32 v4, 16, v66                          // convert bf16 to fp32
_v_mac_f32 v[vgprValuC+67], v4, s[sgprBeta]        // finalSum = sum*alpha + C*beta
v_cmp_u_f32 s[52:53], v[vgprValuC+67], v[vgprValuC+67] // check Nan
v_bfe_u32 v6, v[vgprValuC+67], 16, 1               // Non-Nan case: store lsb of bf16
v_add3_u32 v6, v[vgprValuC+67], v6, v9             // Non-Nan case: add lsb and the increment for rounding
v_cndmask_b32 v[vgprValuC+67], v6, v8, s[52:53]    // 
v_lshrrev_b32 v[vgprValuC+67], 16, v[vgprValuC+67] // convert C to bf16
s_lshl_b32  s52, s[sgprStrideD1J], 1               // incToNextRow: Scale by BPE
s_add_u32  s[sgprSrdD+0], s[sgprSrdD+0], s52       // incToNextRow: gra SRD += inc(lower)
s_addc_u32  s[sgprSrdD+1], s[sgprSrdD+1], 0        // incToNextRow: gra SRD += inc(upper)
_buffer_store_b16 v67, v10, s[sgprSrdD:sgprSrdD+3], 0, offen, offset:0 // store D

s_waitcnt vmcnt(47)                                // wait C (interleaved) 47 = 48 - 28 + 28 - 1
v_lshlrev_b32 v4, 16, v68                          // convert bf16 to fp32
_v_mac_f32 v[vgprValuC+69], v4, s[sgprBeta]        // finalSum = sum*alpha + C*beta
v_cmp_u_f32 s[52:53], v[vgprValuC+69], v[vgprValuC+69] // check Nan
v_bfe_u32 v6, v[vgprValuC+69], 16, 1               // Non-Nan case: store lsb of bf16
v_add3_u32 v6, v[vgprValuC+69], v6, v9             // Non-Nan case: add lsb and the increment for rounding
v_cndmask_b32 v[vgprValuC+69], v6, v8, s[52:53]    // 
v_lshrrev_b32 v[vgprValuC+69], 16, v[vgprValuC+69] // convert C to bf16
_buffer_store_b16 v69, v10, s[sgprSrdD:sgprSrdD+3], 0, offen, offset:64 // store D

s_waitcnt vmcnt(47)                                // wait C (interleaved) 47 = 48 - 29 + 29 - 1
v_lshlrev_b32 v4, 16, v70                          // convert bf16 to fp32
_v_mac_f32 v[vgprValuC+71], v4, s[sgprBeta]        // finalSum = sum*alpha + C*beta
v_cmp_u_f32 s[52:53], v[vgprValuC+71], v[vgprValuC+71] // check Nan
v_bfe_u32 v6, v[vgprValuC+71], 16, 1               // Non-Nan case: store lsb of bf16
v_add3_u32 v6, v[vgprValuC+71], v6, v9             // Non-Nan case: add lsb and the increment for rounding
v_cndmask_b32 v[vgprValuC+71], v6, v8, s[52:53]    // 
v_lshrrev_b32 v[vgprValuC+71], 16, v[vgprValuC+71] // convert C to bf16
_buffer_store_b16 v71, v10, s[sgprSrdD:sgprSrdD+3], 0, offen, offset:128 // store D

s_waitcnt vmcnt(47)                                // wait C (interleaved) 47 = 48 - 30 + 30 - 1
v_lshlrev_b32 v4, 16, v72                          // convert bf16 to fp32
_v_mac_f32 v[vgprValuC+73], v4, s[sgprBeta]        // finalSum = sum*alpha + C*beta
v_cmp_u_f32 s[52:53], v[vgprValuC+73], v[vgprValuC+73] // check Nan
v_bfe_u32 v6, v[vgprValuC+73], 16, 1               // Non-Nan case: store lsb of bf16
v_add3_u32 v6, v[vgprValuC+73], v6, v9             // Non-Nan case: add lsb and the increment for rounding
v_cndmask_b32 v[vgprValuC+73], v6, v8, s[52:53]    // 
v_lshrrev_b32 v[vgprValuC+73], 16, v[vgprValuC+73] // convert C to bf16
s_lshl_b32  s52, s[sgprStrideD1J], 1               // incToNextRow: Scale by BPE
s_add_u32  s[sgprSrdD+0], s[sgprSrdD+0], s52       // incToNextRow: gra SRD += inc(lower)
s_addc_u32  s[sgprSrdD+1], s[sgprSrdD+1], 0        // incToNextRow: gra SRD += inc(upper)
_buffer_store_b16 v73, v10, s[sgprSrdD:sgprSrdD+3], 0, offen, offset:0 // store D

s_waitcnt vmcnt(47)                                // wait C (interleaved) 47 = 48 - 31 + 31 - 1
v_lshlrev_b32 v4, 16, v74                          // convert bf16 to fp32
_v_mac_f32 v[vgprValuC+75], v4, s[sgprBeta]        // finalSum = sum*alpha + C*beta
v_cmp_u_f32 s[52:53], v[vgprValuC+75], v[vgprValuC+75] // check Nan
v_bfe_u32 v6, v[vgprValuC+75], 16, 1               // Non-Nan case: store lsb of bf16
v_add3_u32 v6, v[vgprValuC+75], v6, v9             // Non-Nan case: add lsb and the increment for rounding
v_cndmask_b32 v[vgprValuC+75], v6, v8, s[52:53]    // 
v_lshrrev_b32 v[vgprValuC+75], 16, v[vgprValuC+75] // convert C to bf16
_buffer_store_b16 v75, v10, s[sgprSrdD:sgprSrdD+3], 0, offen, offset:64 // store D

s_waitcnt vmcnt(47)                                // wait C (interleaved) 47 = 48 - 32 + 32 - 1
v_lshlrev_b32 v4, 16, v76                          // convert bf16 to fp32
_v_mac_f32 v[vgprValuC+77], v4, s[sgprBeta]        // finalSum = sum*alpha + C*beta
v_cmp_u_f32 s[52:53], v[vgprValuC+77], v[vgprValuC+77] // check Nan
v_bfe_u32 v6, v[vgprValuC+77], 16, 1               // Non-Nan case: store lsb of bf16
v_add3_u32 v6, v[vgprValuC+77], v6, v9             // Non-Nan case: add lsb and the increment for rounding
v_cndmask_b32 v[vgprValuC+77], v6, v8, s[52:53]    // 
v_lshrrev_b32 v[vgprValuC+77], 16, v[vgprValuC+77] // convert C to bf16
_buffer_store_b16 v77, v10, s[sgprSrdD:sgprSrdD+3], 0, offen, offset:128 // store D

s_waitcnt vmcnt(47)                                // wait C (interleaved) 47 = 48 - 33 + 33 - 1
v_lshlrev_b32 v4, 16, v78                          // convert bf16 to fp32
_v_mac_f32 v[vgprValuC+79], v4, s[sgprBeta]        // finalSum = sum*alpha + C*beta
v_cmp_u_f32 s[52:53], v[vgprValuC+79], v[vgprValuC+79] // check Nan
v_bfe_u32 v6, v[vgprValuC+79], 16, 1               // Non-Nan case: store lsb of bf16
v_add3_u32 v6, v[vgprValuC+79], v6, v9             // Non-Nan case: add lsb and the increment for rounding
v_cndmask_b32 v[vgprValuC+79], v6, v8, s[52:53]    // 
v_lshrrev_b32 v[vgprValuC+79], 16, v[vgprValuC+79] // convert C to bf16
s_lshl_b32  s52, s[sgprStrideD1J], 1               // incToNextRow: Scale by BPE
s_add_u32  s[sgprSrdD+0], s[sgprSrdD+0], s52       // incToNextRow: gra SRD += inc(lower)
s_addc_u32  s[sgprSrdD+1], s[sgprSrdD+1], 0        // incToNextRow: gra SRD += inc(upper)
_buffer_store_b16 v79, v10, s[sgprSrdD:sgprSrdD+3], 0, offen, offset:0 // store D

s_waitcnt vmcnt(47)                                // wait C (interleaved) 47 = 48 - 34 + 34 - 1
v_lshlrev_b32 v4, 16, v80                          // convert bf16 to fp32
_v_mac_f32 v[vgprValuC+81], v4, s[sgprBeta]        // finalSum = sum*alpha + C*beta
v_cmp_u_f32 s[52:53], v[vgprValuC+81], v[vgprValuC+81] // check Nan
v_bfe_u32 v6, v[vgprValuC+81], 16, 1               // Non-Nan case: store lsb of bf16
v_add3_u32 v6, v[vgprValuC+81], v6, v9             // Non-Nan case: add lsb and the increment for rounding
v_cndmask_b32 v[vgprValuC+81], v6, v8, s[52:53]    // 
v_lshrrev_b32 v[vgprValuC+81], 16, v[vgprValuC+81] // convert C to bf16
_buffer_store_b16 v81, v10, s[sgprSrdD:sgprSrdD+3], 0, offen, offset:64 // store D

s_waitcnt vmcnt(47)                                // wait C (interleaved) 47 = 48 - 35 + 35 - 1
v_lshlrev_b32 v4, 16, v82                          // convert bf16 to fp32
_v_mac_f32 v[vgprValuC+83], v4, s[sgprBeta]        // finalSum = sum*alpha + C*beta
v_cmp_u_f32 s[52:53], v[vgprValuC+83], v[vgprValuC+83] // check Nan
v_bfe_u32 v6, v[vgprValuC+83], 16, 1               // Non-Nan case: store lsb of bf16
v_add3_u32 v6, v[vgprValuC+83], v6, v9             // Non-Nan case: add lsb and the increment for rounding
v_cndmask_b32 v[vgprValuC+83], v6, v8, s[52:53]    // 
v_lshrrev_b32 v[vgprValuC+83], 16, v[vgprValuC+83] // convert C to bf16
	;; [unrolled: 10-line block ×3, first 2 shown]
s_mul_i32 s52, s[sgprStrideD1J], 10                // scale StrideD *= numRows(5) * bpe
s_add_u32  s[sgprSrdD+0], s[sgprSrdD+0], s52       // incToNextRow: gra SRD += inc(lower)
s_addc_u32  s[sgprSrdD+1], s[sgprSrdD+1], 0        // incToNextRow: gra SRD += inc(upper)
_buffer_store_b16 v85, v10, s[sgprSrdD:sgprSrdD+3], 0, offen, offset:0 // store D

s_waitcnt vmcnt(47)                                // wait C (interleaved) 47 = 48 - 37 + 37 - 1
v_lshlrev_b32 v4, 16, v86                          // convert bf16 to fp32
_v_mac_f32 v[vgprValuC+87], v4, s[sgprBeta]        // finalSum = sum*alpha + C*beta
v_cmp_u_f32 s[52:53], v[vgprValuC+87], v[vgprValuC+87] // check Nan
v_bfe_u32 v6, v[vgprValuC+87], 16, 1               // Non-Nan case: store lsb of bf16
v_add3_u32 v6, v[vgprValuC+87], v6, v9             // Non-Nan case: add lsb and the increment for rounding
v_cndmask_b32 v[vgprValuC+87], v6, v8, s[52:53]    // 
v_lshrrev_b32 v[vgprValuC+87], 16, v[vgprValuC+87] // convert C to bf16
_buffer_store_b16 v87, v10, s[sgprSrdD:sgprSrdD+3], 0, offen, offset:64 // store D

s_waitcnt vmcnt(47)                                // wait C (interleaved) 47 = 48 - 38 + 38 - 1
v_lshlrev_b32 v4, 16, v88                          // convert bf16 to fp32
_v_mac_f32 v[vgprValuC+89], v4, s[sgprBeta]        // finalSum = sum*alpha + C*beta
v_cmp_u_f32 s[52:53], v[vgprValuC+89], v[vgprValuC+89] // check Nan
v_bfe_u32 v6, v[vgprValuC+89], 16, 1               // Non-Nan case: store lsb of bf16
v_add3_u32 v6, v[vgprValuC+89], v6, v9             // Non-Nan case: add lsb and the increment for rounding
v_cndmask_b32 v[vgprValuC+89], v6, v8, s[52:53]    // 
v_lshrrev_b32 v[vgprValuC+89], 16, v[vgprValuC+89] // convert C to bf16
	;; [unrolled: 10-line block ×3, first 2 shown]
s_lshl_b32  s52, s[sgprStrideD1J], 1               // incToNextRow: Scale by BPE
s_add_u32  s[sgprSrdD+0], s[sgprSrdD+0], s52       // incToNextRow: gra SRD += inc(lower)
s_addc_u32  s[sgprSrdD+1], s[sgprSrdD+1], 0        // incToNextRow: gra SRD += inc(upper)
_buffer_store_b16 v91, v10, s[sgprSrdD:sgprSrdD+3], 0, offen, offset:0 // store D

s_waitcnt vmcnt(47)                                // wait C (interleaved) 47 = 48 - 40 + 40 - 1
v_lshlrev_b32 v4, 16, v92                          // convert bf16 to fp32
_v_mac_f32 v[vgprValuC+93], v4, s[sgprBeta]        // finalSum = sum*alpha + C*beta
v_cmp_u_f32 s[52:53], v[vgprValuC+93], v[vgprValuC+93] // check Nan
v_bfe_u32 v6, v[vgprValuC+93], 16, 1               // Non-Nan case: store lsb of bf16
v_add3_u32 v6, v[vgprValuC+93], v6, v9             // Non-Nan case: add lsb and the increment for rounding
v_cndmask_b32 v[vgprValuC+93], v6, v8, s[52:53]    // 
v_lshrrev_b32 v[vgprValuC+93], 16, v[vgprValuC+93] // convert C to bf16
_buffer_store_b16 v93, v10, s[sgprSrdD:sgprSrdD+3], 0, offen, offset:64 // store D

s_waitcnt vmcnt(47)                                // wait C (interleaved) 47 = 48 - 41 + 41 - 1
v_lshlrev_b32 v4, 16, v94                          // convert bf16 to fp32
_v_mac_f32 v[vgprValuC+95], v4, s[sgprBeta]        // finalSum = sum*alpha + C*beta
v_cmp_u_f32 s[52:53], v[vgprValuC+95], v[vgprValuC+95] // check Nan
v_bfe_u32 v6, v[vgprValuC+95], 16, 1               // Non-Nan case: store lsb of bf16
v_add3_u32 v6, v[vgprValuC+95], v6, v9             // Non-Nan case: add lsb and the increment for rounding
v_cndmask_b32 v[vgprValuC+95], v6, v8, s[52:53]    // 
v_lshrrev_b32 v[vgprValuC+95], 16, v[vgprValuC+95] // convert C to bf16
_buffer_store_b16 v95, v10, s[sgprSrdD:sgprSrdD+3], 0, offen, offset:128 // store D

s_waitcnt vmcnt(47)                                // wait C (interleaved) 47 = 48 - 42 + 42 - 1
v_lshlrev_b32 v4, 16, v99                          // convert bf16 to fp32
_v_mac_f32 v[vgprValuC+100], v4, s[sgprBeta]       // finalSum = sum*alpha + C*beta
v_cmp_u_f32 s[52:53], v[vgprValuC+100], v[vgprValuC+100] // check Nan
v_bfe_u32 v6, v[vgprValuC+100], 16, 1              // Non-Nan case: store lsb of bf16
v_add3_u32 v6, v[vgprValuC+100], v6, v9            // Non-Nan case: add lsb and the increment for rounding
v_cndmask_b32 v[vgprValuC+100], v6, v8, s[52:53]   // 
v_lshrrev_b32 v[vgprValuC+100], 16, v[vgprValuC+100] // convert C to bf16
s_lshl_b32  s52, s[sgprStrideD1J], 1               // incToNextRow: Scale by BPE
s_add_u32  s[sgprSrdD+0], s[sgprSrdD+0], s52       // incToNextRow: gra SRD += inc(lower)
s_addc_u32  s[sgprSrdD+1], s[sgprSrdD+1], 0        // incToNextRow: gra SRD += inc(upper)
_buffer_store_b16 v100, v10, s[sgprSrdD:sgprSrdD+3], 0, offen, offset:0 // store D

s_waitcnt vmcnt(47)                                // wait C (interleaved) 47 = 48 - 43 + 43 - 1
v_lshlrev_b32 v4, 16, v101                         // convert bf16 to fp32
_v_mac_f32 v[vgprValuC+102], v4, s[sgprBeta]       // finalSum = sum*alpha + C*beta
v_cmp_u_f32 s[52:53], v[vgprValuC+102], v[vgprValuC+102] // check Nan
v_bfe_u32 v6, v[vgprValuC+102], 16, 1              // Non-Nan case: store lsb of bf16
v_add3_u32 v6, v[vgprValuC+102], v6, v9            // Non-Nan case: add lsb and the increment for rounding
v_cndmask_b32 v[vgprValuC+102], v6, v8, s[52:53]   // 
v_lshrrev_b32 v[vgprValuC+102], 16, v[vgprValuC+102] // convert C to bf16
_buffer_store_b16 v102, v10, s[sgprSrdD:sgprSrdD+3], 0, offen, offset:64 // store D

s_waitcnt vmcnt(47)                                // wait C (interleaved) 47 = 48 - 44 + 44 - 1
v_lshlrev_b32 v4, 16, v103                         // convert bf16 to fp32
_v_mac_f32 v[vgprValuC+104], v4, s[sgprBeta]       // finalSum = sum*alpha + C*beta
v_cmp_u_f32 s[52:53], v[vgprValuC+104], v[vgprValuC+104] // check Nan
v_bfe_u32 v6, v[vgprValuC+104], 16, 1              // Non-Nan case: store lsb of bf16
v_add3_u32 v6, v[vgprValuC+104], v6, v9            // Non-Nan case: add lsb and the increment for rounding
v_cndmask_b32 v[vgprValuC+104], v6, v8, s[52:53]   // 
v_lshrrev_b32 v[vgprValuC+104], 16, v[vgprValuC+104] // convert C to bf16
	;; [unrolled: 10-line block ×3, first 2 shown]
s_lshl_b32  s52, s[sgprStrideD1J], 1               // incToNextRow: Scale by BPE
s_add_u32  s[sgprSrdD+0], s[sgprSrdD+0], s52       // incToNextRow: gra SRD += inc(lower)
s_addc_u32  s[sgprSrdD+1], s[sgprSrdD+1], 0        // incToNextRow: gra SRD += inc(upper)
_buffer_store_b16 v106, v10, s[sgprSrdD:sgprSrdD+3], 0, offen, offset:0 // store D

s_waitcnt vmcnt(47)                                // wait C (interleaved) 47 = 48 - 46 + 46 - 1
v_lshlrev_b32 v4, 16, v107                         // convert bf16 to fp32
_v_mac_f32 v[vgprValuC+108], v4, s[sgprBeta]       // finalSum = sum*alpha + C*beta
v_cmp_u_f32 s[52:53], v[vgprValuC+108], v[vgprValuC+108] // check Nan
v_bfe_u32 v6, v[vgprValuC+108], 16, 1              // Non-Nan case: store lsb of bf16
v_add3_u32 v6, v[vgprValuC+108], v6, v9            // Non-Nan case: add lsb and the increment for rounding
v_cndmask_b32 v[vgprValuC+108], v6, v8, s[52:53]   // 
v_lshrrev_b32 v[vgprValuC+108], 16, v[vgprValuC+108] // convert C to bf16
_buffer_store_b16 v108, v10, s[sgprSrdD:sgprSrdD+3], 0, offen, offset:64 // store D

s_waitcnt vmcnt(47)                                // wait C (interleaved) 47 = 48 - 47 + 47 - 1
v_lshlrev_b32 v4, 16, v109                         // convert bf16 to fp32
_v_mac_f32 v[vgprValuC+110], v4, s[sgprBeta]       // finalSum = sum*alpha + C*beta
v_cmp_u_f32 s[52:53], v[vgprValuC+110], v[vgprValuC+110] // check Nan
v_bfe_u32 v6, v[vgprValuC+110], 16, 1              // Non-Nan case: store lsb of bf16
v_add3_u32 v6, v[vgprValuC+110], v6, v9            // Non-Nan case: add lsb and the increment for rounding
v_cndmask_b32 v[vgprValuC+110], v6, v8, s[52:53]   // 
v_lshrrev_b32 v[vgprValuC+110], 16, v[vgprValuC+110] // convert C to bf16
_buffer_store_b16 v110, v10, s[sgprSrdD:sgprSrdD+3], 0, offen, offset:128 // store D
s_nop 0                                            // 1 wait state required when next inst writes vgprs held by previous dwordx4 store inst
s_branch label_GW_End_44                           // jump to end
GW_B1_E1_43:

/* edge=1, allocate 6 sgpr. perBatchTmpS=4 perBatchMaskS=2 perElementMaskS=0 elementsPerBatch=64 */
/* optSingleColVgpr=0 optSharedColVgpr=0 optSGPRUsage=BufferLoad_Edge_Mask optSrdIncForRow=0 */
s_sleep 3 // optimization: sync and wait
s_barrier

/******************************************/
/* Global Write Alpha Beta Edge Batch #0 (d1,d0,vc1,vc0) = */
/*    (0,0,0,0:vw1); (0,1,0,0:vw1); (0,2,0,0:vw1); (0,0,1,0:vw1); (0,1,1,0:vw1); (0,2,1,0:vw1); (0,0,2,0:vw1); (0,1,2,0:vw1); (0,2,2,0:vw1); (0,0,3,0:vw1); (0,1,3,0:vw1); (0,2,3,0:vw1); (1,0,0,0:vw1); (1,1,0,0:vw1); (1,2,0,0:vw1); (1,0,1,0:vw1); (1,1,1,0:vw1); (1,2,1,0:vw1); (1,0,2,0:vw1); (1,1,2,0:vw1); (1,2,2,0:vw1); (1,0,3,0:vw1); (1,1,3,0:vw1); (1,2,3,0:vw1); (2,0,0,0:vw1); (2,1,0,0:vw1); (2,2,0,0:vw1); (2,0,1,0:vw1); (2,1,1,0:vw1); (2,2,1,0:vw1); (2,0,2,0:vw1); (2,1,2,0:vw1); (2,2,2,0:vw1); (2,0,3,0:vw1); (2,1,3,0:vw1); (2,2,3,0:vw1); (3,0,0,0:vw1); (3,1,0,0:vw1); (3,2,0,0:vw1); (3,0,1,0:vw1); (3,1,1,0:vw1); (3,2,1,0:vw1); (3,0,2,0:vw1); (3,1,2,0:vw1); (3,2,2,0:vw1); (3,0,3,0:vw1); (3,1,3,0:vw1); (3,2,3,0:vw1) */
/******************************************/

/* calc coords, apply mask, and issue loads (if necessary) */
/* (d1,vc1,d0,vc0)=(0,0,0,0) */
v_cmp_lt_u32 s[52:53], v0, s[sgprSizeI]            // coord0 < size0
v_cmp_lt_u32 s[56:57], v1, s[sgprSizeJ]            // coord1 < size1
s_and_b64 s[56:57], s[52:53], s[56:57]             // in0 && in1
_v_add_lshl_u32 v10, v2, v0, 0x1                   // scaleToBpe: accumulate d0 lower and *= bpe into Cin addr
v_cndmask_b32 v10, -1, v10, s[56:57]               // LDC clip if OOB. offset
_buffer_load_d16_b16 v11, v10, s[sgprSrdC:sgprSrdC+3], 0, offen offset:0 // load C for beta calc
_v_add_lshl_u32 v10, v3, v0, 0x1                   // scaleToBpe: accumulate d0 lower and *= bpe into Cin addr
v_cndmask_b32 v10, -1, v10, s[56:57]               // LDD clip if OOB. offset
/* (d1,vc1,d0,vc0)=(0,0,1,0) */
_v_add_co_u32 v4, vcc, v0, 32                      // coord0.1: coord0 += d0*sg0*VW + vc0
v_cmp_lt_u32 s[52:53], v4, s[sgprSizeI]            // coord0 < size0
v_cmp_lt_u32 s[56:57], v1, s[sgprSizeJ]            // coord1 < size1
s_and_b64 s[56:57], s[52:53], s[56:57]             // in0 && in1
_v_add_lshl_u32 v13, v2, v4, 0x1                   // scaleToBpe: accumulate d0 lower and *= bpe into Cin addr
v_cndmask_b32 v13, -1, v13, s[56:57]               // LDC clip if OOB. offset
_buffer_load_d16_b16 v14, v13, s[sgprSrdC:sgprSrdC+3], 0, offen offset:0 // load C for beta calc
_v_add_lshl_u32 v13, v3, v4, 0x1                   // scaleToBpe: accumulate d0 lower and *= bpe into Cin addr
v_cndmask_b32 v13, -1, v13, s[56:57]               // LDD clip if OOB. offset
/* (d1,vc1,d0,vc0)=(0,0,2,0) */
_v_add_co_u32 v4, vcc, v0, 64                      // coord0.1: coord0 += d0*sg0*VW + vc0
v_cmp_lt_u32 s[52:53], v4, s[sgprSizeI]            // coord0 < size0
v_cmp_lt_u32 s[56:57], v1, s[sgprSizeJ]            // coord1 < size1
s_and_b64 s[56:57], s[52:53], s[56:57]             // in0 && in1
_v_add_lshl_u32 v16, v2, v4, 0x1                   // scaleToBpe: accumulate d0 lower and *= bpe into Cin addr
v_cndmask_b32 v16, -1, v16, s[56:57]               // LDC clip if OOB. offset
_buffer_load_d16_b16 v17, v16, s[sgprSrdC:sgprSrdC+3], 0, offen offset:0 // load C for beta calc
_v_add_lshl_u32 v16, v3, v4, 0x1                   // scaleToBpe: accumulate d0 lower and *= bpe into Cin addr
v_cndmask_b32 v16, -1, v16, s[56:57]               // LDD clip if OOB. offset
/* (d1,vc1,d0,vc0)=(0,1,0,0) */
_v_add_co_u32 v1, vcc, v1, 1                       // coord1.1: coord1Vgpr += d1*sg1*VW + vc1

/* Fix for UseInitialStridesCD, emitAddressSetupCode */
_v_add_u32 v2, v2, s[sgprStrideC1J]                // ROWINC- Move cinRowPtr to next row
_v_add_u32 v3, v3, s[sgprStrideD1J]                // Move coutRowPtr to next row
v_cmp_lt_u32 s[52:53], v0, s[sgprSizeI]            // coord0 < size0
v_cmp_lt_u32 s[56:57], v1, s[sgprSizeJ]            // coord1 < size1
s_and_b64 s[56:57], s[52:53], s[56:57]             // in0 && in1
_v_add_lshl_u32 v19, v2, v0, 0x1                   // scaleToBpe: accumulate d0 lower and *= bpe into Cin addr
v_cndmask_b32 v19, -1, v19, s[56:57]               // LDC clip if OOB. offset
_buffer_load_d16_b16 v20, v19, s[sgprSrdC:sgprSrdC+3], 0, offen offset:0 // load C for beta calc
_v_add_lshl_u32 v19, v3, v0, 0x1                   // scaleToBpe: accumulate d0 lower and *= bpe into Cin addr
v_cndmask_b32 v19, -1, v19, s[56:57]               // LDD clip if OOB. offset
/* (d1,vc1,d0,vc0)=(0,1,1,0) */
_v_add_co_u32 v4, vcc, v0, 32                      // coord0.1: coord0 += d0*sg0*VW + vc0
v_cmp_lt_u32 s[52:53], v4, s[sgprSizeI]            // coord0 < size0
v_cmp_lt_u32 s[56:57], v1, s[sgprSizeJ]            // coord1 < size1
s_and_b64 s[56:57], s[52:53], s[56:57]             // in0 && in1
_v_add_lshl_u32 v22, v2, v4, 0x1                   // scaleToBpe: accumulate d0 lower and *= bpe into Cin addr
v_cndmask_b32 v22, -1, v22, s[56:57]               // LDC clip if OOB. offset
_buffer_load_d16_b16 v23, v22, s[sgprSrdC:sgprSrdC+3], 0, offen offset:0 // load C for beta calc
_v_add_lshl_u32 v22, v3, v4, 0x1                   // scaleToBpe: accumulate d0 lower and *= bpe into Cin addr
v_cndmask_b32 v22, -1, v22, s[56:57]               // LDD clip if OOB. offset
/* (d1,vc1,d0,vc0)=(0,1,2,0) */
_v_add_co_u32 v4, vcc, v0, 64                      // coord0.1: coord0 += d0*sg0*VW + vc0
v_cmp_lt_u32 s[52:53], v4, s[sgprSizeI]            // coord0 < size0
v_cmp_lt_u32 s[56:57], v1, s[sgprSizeJ]            // coord1 < size1
s_and_b64 s[56:57], s[52:53], s[56:57]             // in0 && in1
_v_add_lshl_u32 v25, v2, v4, 0x1                   // scaleToBpe: accumulate d0 lower and *= bpe into Cin addr
v_cndmask_b32 v25, -1, v25, s[56:57]               // LDC clip if OOB. offset
_buffer_load_d16_b16 v26, v25, s[sgprSrdC:sgprSrdC+3], 0, offen offset:0 // load C for beta calc
_v_add_lshl_u32 v25, v3, v4, 0x1                   // scaleToBpe: accumulate d0 lower and *= bpe into Cin addr
v_cndmask_b32 v25, -1, v25, s[56:57]               // LDD clip if OOB. offset
/* (d1,vc1,d0,vc0)=(0,2,0,0) */
_v_add_co_u32 v1, vcc, v1, 1                       // coord1.1: coord1Vgpr += d1*sg1*VW + vc1

/* Fix for UseInitialStridesCD, emitAddressSetupCode */
_v_add_u32 v2, v2, s[sgprStrideC1J]                // ROWINC- Move cinRowPtr to next row
_v_add_u32 v3, v3, s[sgprStrideD1J]                // Move coutRowPtr to next row
	;; [unrolled: 34-line block ×3, first 2 shown]
v_cmp_lt_u32 s[52:53], v0, s[sgprSizeI]            // coord0 < size0
v_cmp_lt_u32 s[56:57], v1, s[sgprSizeJ]            // coord1 < size1
s_and_b64 s[56:57], s[52:53], s[56:57]             // in0 && in1
_v_add_lshl_u32 v37, v2, v0, 0x1                   // scaleToBpe: accumulate d0 lower and *= bpe into Cin addr
v_cndmask_b32 v37, -1, v37, s[56:57]               // LDC clip if OOB. offset
_buffer_load_d16_b16 v38, v37, s[sgprSrdC:sgprSrdC+3], 0, offen offset:0 // load C for beta calc
_v_add_lshl_u32 v37, v3, v0, 0x1                   // scaleToBpe: accumulate d0 lower and *= bpe into Cin addr
v_cndmask_b32 v37, -1, v37, s[56:57]               // LDD clip if OOB. offset
/* (d1,vc1,d0,vc0)=(0,3,1,0) */
_v_add_co_u32 v4, vcc, v0, 32                      // coord0.1: coord0 += d0*sg0*VW + vc0
v_cmp_lt_u32 s[52:53], v4, s[sgprSizeI]            // coord0 < size0
v_cmp_lt_u32 s[56:57], v1, s[sgprSizeJ]            // coord1 < size1
s_and_b64 s[56:57], s[52:53], s[56:57]             // in0 && in1
_v_add_lshl_u32 v40, v2, v4, 0x1                   // scaleToBpe: accumulate d0 lower and *= bpe into Cin addr
v_cndmask_b32 v40, -1, v40, s[56:57]               // LDC clip if OOB. offset
_buffer_load_d16_b16 v41, v40, s[sgprSrdC:sgprSrdC+3], 0, offen offset:0 // load C for beta calc
_v_add_lshl_u32 v40, v3, v4, 0x1                   // scaleToBpe: accumulate d0 lower and *= bpe into Cin addr
v_cndmask_b32 v40, -1, v40, s[56:57]               // LDD clip if OOB. offset
/* (d1,vc1,d0,vc0)=(0,3,2,0) */
_v_add_co_u32 v4, vcc, v0, 64                      // coord0.1: coord0 += d0*sg0*VW + vc0
v_cmp_lt_u32 s[52:53], v4, s[sgprSizeI]            // coord0 < size0
v_cmp_lt_u32 s[56:57], v1, s[sgprSizeJ]            // coord1 < size1
s_and_b64 s[56:57], s[52:53], s[56:57]             // in0 && in1
_v_add_lshl_u32 v43, v2, v4, 0x1                   // scaleToBpe: accumulate d0 lower and *= bpe into Cin addr
v_cndmask_b32 v43, -1, v43, s[56:57]               // LDC clip if OOB. offset
_buffer_load_d16_b16 v44, v43, s[sgprSrdC:sgprSrdC+3], 0, offen offset:0 // load C for beta calc
_v_add_lshl_u32 v43, v3, v4, 0x1                   // scaleToBpe: accumulate d0 lower and *= bpe into Cin addr
v_cndmask_b32 v43, -1, v43, s[56:57]               // LDD clip if OOB. offset
/* (d1,vc1,d0,vc0)=(1,0,0,0) */
_v_add_co_u32 v1, vcc, v1, 5                       // coord1.1: coord1Vgpr += d1*sg1*VW + vc1

/* Fix for UseInitialStridesCD, emitAddressSetupCode */
s_mul_i32 s52, s[sgprStrideC1J], 5                 // scale stride
_v_add_u32 v2, v2, s52                             // ROWINC- Move cinRowPtr to next row
s_mul_i32 s52, s[sgprStrideD1J], 5                 // scale stride
_v_add_u32 v3, v3, s52                             // Move coutRowPtr to next row
v_cmp_lt_u32 s[52:53], v0, s[sgprSizeI]            // coord0 < size0
v_cmp_lt_u32 s[56:57], v1, s[sgprSizeJ]            // coord1 < size1
s_and_b64 s[56:57], s[52:53], s[56:57]             // in0 && in1
_v_add_lshl_u32 v46, v2, v0, 0x1                   // scaleToBpe: accumulate d0 lower and *= bpe into Cin addr
v_cndmask_b32 v46, -1, v46, s[56:57]               // LDC clip if OOB. offset
_buffer_load_d16_b16 v47, v46, s[sgprSrdC:sgprSrdC+3], 0, offen offset:0 // load C for beta calc
_v_add_lshl_u32 v46, v3, v0, 0x1                   // scaleToBpe: accumulate d0 lower and *= bpe into Cin addr
v_cndmask_b32 v46, -1, v46, s[56:57]               // LDD clip if OOB. offset
/* (d1,vc1,d0,vc0)=(1,0,1,0) */
_v_add_co_u32 v4, vcc, v0, 32                      // coord0.1: coord0 += d0*sg0*VW + vc0
v_cmp_lt_u32 s[52:53], v4, s[sgprSizeI]            // coord0 < size0
v_cmp_lt_u32 s[56:57], v1, s[sgprSizeJ]            // coord1 < size1
s_and_b64 s[56:57], s[52:53], s[56:57]             // in0 && in1
_v_add_lshl_u32 v49, v2, v4, 0x1                   // scaleToBpe: accumulate d0 lower and *= bpe into Cin addr
v_cndmask_b32 v49, -1, v49, s[56:57]               // LDC clip if OOB. offset
_buffer_load_d16_b16 v50, v49, s[sgprSrdC:sgprSrdC+3], 0, offen offset:0 // load C for beta calc
_v_add_lshl_u32 v49, v3, v4, 0x1                   // scaleToBpe: accumulate d0 lower and *= bpe into Cin addr
v_cndmask_b32 v49, -1, v49, s[56:57]               // LDD clip if OOB. offset
/* (d1,vc1,d0,vc0)=(1,0,2,0) */
_v_add_co_u32 v4, vcc, v0, 64                      // coord0.1: coord0 += d0*sg0*VW + vc0
v_cmp_lt_u32 s[52:53], v4, s[sgprSizeI]            // coord0 < size0
v_cmp_lt_u32 s[56:57], v1, s[sgprSizeJ]            // coord1 < size1
s_and_b64 s[56:57], s[52:53], s[56:57]             // in0 && in1
_v_add_lshl_u32 v52, v2, v4, 0x1                   // scaleToBpe: accumulate d0 lower and *= bpe into Cin addr
v_cndmask_b32 v52, -1, v52, s[56:57]               // LDC clip if OOB. offset
_buffer_load_d16_b16 v53, v52, s[sgprSrdC:sgprSrdC+3], 0, offen offset:0 // load C for beta calc
_v_add_lshl_u32 v52, v3, v4, 0x1                   // scaleToBpe: accumulate d0 lower and *= bpe into Cin addr
v_cndmask_b32 v52, -1, v52, s[56:57]               // LDD clip if OOB. offset
/* (d1,vc1,d0,vc0)=(1,1,0,0) */
_v_add_co_u32 v1, vcc, v1, 1                       // coord1.1: coord1Vgpr += d1*sg1*VW + vc1

/* Fix for UseInitialStridesCD, emitAddressSetupCode */
_v_add_u32 v2, v2, s[sgprStrideC1J]                // ROWINC- Move cinRowPtr to next row
_v_add_u32 v3, v3, s[sgprStrideD1J]                // Move coutRowPtr to next row
v_cmp_lt_u32 s[52:53], v0, s[sgprSizeI]            // coord0 < size0
v_cmp_lt_u32 s[56:57], v1, s[sgprSizeJ]            // coord1 < size1
s_and_b64 s[56:57], s[52:53], s[56:57]             // in0 && in1
_v_add_lshl_u32 v55, v2, v0, 0x1                   // scaleToBpe: accumulate d0 lower and *= bpe into Cin addr
v_cndmask_b32 v55, -1, v55, s[56:57]               // LDC clip if OOB. offset
_buffer_load_d16_b16 v56, v55, s[sgprSrdC:sgprSrdC+3], 0, offen offset:0 // load C for beta calc
_v_add_lshl_u32 v55, v3, v0, 0x1                   // scaleToBpe: accumulate d0 lower and *= bpe into Cin addr
v_cndmask_b32 v55, -1, v55, s[56:57]               // LDD clip if OOB. offset
/* (d1,vc1,d0,vc0)=(1,1,1,0) */
_v_add_co_u32 v4, vcc, v0, 32                      // coord0.1: coord0 += d0*sg0*VW + vc0
v_cmp_lt_u32 s[52:53], v4, s[sgprSizeI]            // coord0 < size0
v_cmp_lt_u32 s[56:57], v1, s[sgprSizeJ]            // coord1 < size1
s_and_b64 s[56:57], s[52:53], s[56:57]             // in0 && in1
_v_add_lshl_u32 v58, v2, v4, 0x1                   // scaleToBpe: accumulate d0 lower and *= bpe into Cin addr
v_cndmask_b32 v58, -1, v58, s[56:57]               // LDC clip if OOB. offset
_buffer_load_d16_b16 v59, v58, s[sgprSrdC:sgprSrdC+3], 0, offen offset:0 // load C for beta calc
_v_add_lshl_u32 v58, v3, v4, 0x1                   // scaleToBpe: accumulate d0 lower and *= bpe into Cin addr
v_cndmask_b32 v58, -1, v58, s[56:57]               // LDD clip if OOB. offset
/* (d1,vc1,d0,vc0)=(1,1,2,0) */
_v_add_co_u32 v4, vcc, v0, 64                      // coord0.1: coord0 += d0*sg0*VW + vc0
v_cmp_lt_u32 s[52:53], v4, s[sgprSizeI]            // coord0 < size0
v_cmp_lt_u32 s[56:57], v1, s[sgprSizeJ]            // coord1 < size1
s_and_b64 s[56:57], s[52:53], s[56:57]             // in0 && in1
_v_add_lshl_u32 v61, v2, v4, 0x1                   // scaleToBpe: accumulate d0 lower and *= bpe into Cin addr
v_cndmask_b32 v61, -1, v61, s[56:57]               // LDC clip if OOB. offset
_buffer_load_d16_b16 v62, v61, s[sgprSrdC:sgprSrdC+3], 0, offen offset:0 // load C for beta calc
_v_add_lshl_u32 v61, v3, v4, 0x1                   // scaleToBpe: accumulate d0 lower and *= bpe into Cin addr
v_cndmask_b32 v61, -1, v61, s[56:57]               // LDD clip if OOB. offset
/* (d1,vc1,d0,vc0)=(1,2,0,0) */
_v_add_co_u32 v1, vcc, v1, 1                       // coord1.1: coord1Vgpr += d1*sg1*VW + vc1

/* Fix for UseInitialStridesCD, emitAddressSetupCode */
_v_add_u32 v2, v2, s[sgprStrideC1J]                // ROWINC- Move cinRowPtr to next row
_v_add_u32 v3, v3, s[sgprStrideD1J]                // Move coutRowPtr to next row
	;; [unrolled: 34-line block ×3, first 2 shown]
v_cmp_lt_u32 s[52:53], v0, s[sgprSizeI]            // coord0 < size0
v_cmp_lt_u32 s[56:57], v1, s[sgprSizeJ]            // coord1 < size1
s_and_b64 s[56:57], s[52:53], s[56:57]             // in0 && in1
_v_add_lshl_u32 v73, v2, v0, 0x1                   // scaleToBpe: accumulate d0 lower and *= bpe into Cin addr
v_cndmask_b32 v73, -1, v73, s[56:57]               // LDC clip if OOB. offset
_buffer_load_d16_b16 v74, v73, s[sgprSrdC:sgprSrdC+3], 0, offen offset:0 // load C for beta calc
_v_add_lshl_u32 v73, v3, v0, 0x1                   // scaleToBpe: accumulate d0 lower and *= bpe into Cin addr
v_cndmask_b32 v73, -1, v73, s[56:57]               // LDD clip if OOB. offset
/* (d1,vc1,d0,vc0)=(1,3,1,0) */
_v_add_co_u32 v4, vcc, v0, 32                      // coord0.1: coord0 += d0*sg0*VW + vc0
v_cmp_lt_u32 s[52:53], v4, s[sgprSizeI]            // coord0 < size0
v_cmp_lt_u32 s[56:57], v1, s[sgprSizeJ]            // coord1 < size1
s_and_b64 s[56:57], s[52:53], s[56:57]             // in0 && in1
_v_add_lshl_u32 v76, v2, v4, 0x1                   // scaleToBpe: accumulate d0 lower and *= bpe into Cin addr
v_cndmask_b32 v76, -1, v76, s[56:57]               // LDC clip if OOB. offset
_buffer_load_d16_b16 v77, v76, s[sgprSrdC:sgprSrdC+3], 0, offen offset:0 // load C for beta calc
_v_add_lshl_u32 v76, v3, v4, 0x1                   // scaleToBpe: accumulate d0 lower and *= bpe into Cin addr
v_cndmask_b32 v76, -1, v76, s[56:57]               // LDD clip if OOB. offset
/* (d1,vc1,d0,vc0)=(1,3,2,0) */
_v_add_co_u32 v4, vcc, v0, 64                      // coord0.1: coord0 += d0*sg0*VW + vc0
v_cmp_lt_u32 s[52:53], v4, s[sgprSizeI]            // coord0 < size0
v_cmp_lt_u32 s[56:57], v1, s[sgprSizeJ]            // coord1 < size1
s_and_b64 s[56:57], s[52:53], s[56:57]             // in0 && in1
_v_add_lshl_u32 v79, v2, v4, 0x1                   // scaleToBpe: accumulate d0 lower and *= bpe into Cin addr
v_cndmask_b32 v79, -1, v79, s[56:57]               // LDC clip if OOB. offset
_buffer_load_d16_b16 v80, v79, s[sgprSrdC:sgprSrdC+3], 0, offen offset:0 // load C for beta calc
_v_add_lshl_u32 v79, v3, v4, 0x1                   // scaleToBpe: accumulate d0 lower and *= bpe into Cin addr
v_cndmask_b32 v79, -1, v79, s[56:57]               // LDD clip if OOB. offset
/* (d1,vc1,d0,vc0)=(2,0,0,0) */
_v_add_co_u32 v1, vcc, v1, 5                       // coord1.1: coord1Vgpr += d1*sg1*VW + vc1

/* Fix for UseInitialStridesCD, emitAddressSetupCode */
s_mul_i32 s52, s[sgprStrideC1J], 5                 // scale stride
_v_add_u32 v2, v2, s52                             // ROWINC- Move cinRowPtr to next row
s_mul_i32 s52, s[sgprStrideD1J], 5                 // scale stride
_v_add_u32 v3, v3, s52                             // Move coutRowPtr to next row
v_cmp_lt_u32 s[52:53], v0, s[sgprSizeI]            // coord0 < size0
v_cmp_lt_u32 s[56:57], v1, s[sgprSizeJ]            // coord1 < size1
s_and_b64 s[56:57], s[52:53], s[56:57]             // in0 && in1
_v_add_lshl_u32 v82, v2, v0, 0x1                   // scaleToBpe: accumulate d0 lower and *= bpe into Cin addr
v_cndmask_b32 v82, -1, v82, s[56:57]               // LDC clip if OOB. offset
_buffer_load_d16_b16 v83, v82, s[sgprSrdC:sgprSrdC+3], 0, offen offset:0 // load C for beta calc
_v_add_lshl_u32 v82, v3, v0, 0x1                   // scaleToBpe: accumulate d0 lower and *= bpe into Cin addr
v_cndmask_b32 v82, -1, v82, s[56:57]               // LDD clip if OOB. offset
/* (d1,vc1,d0,vc0)=(2,0,1,0) */
_v_add_co_u32 v4, vcc, v0, 32                      // coord0.1: coord0 += d0*sg0*VW + vc0
v_cmp_lt_u32 s[52:53], v4, s[sgprSizeI]            // coord0 < size0
v_cmp_lt_u32 s[56:57], v1, s[sgprSizeJ]            // coord1 < size1
s_and_b64 s[56:57], s[52:53], s[56:57]             // in0 && in1
_v_add_lshl_u32 v85, v2, v4, 0x1                   // scaleToBpe: accumulate d0 lower and *= bpe into Cin addr
v_cndmask_b32 v85, -1, v85, s[56:57]               // LDC clip if OOB. offset
_buffer_load_d16_b16 v86, v85, s[sgprSrdC:sgprSrdC+3], 0, offen offset:0 // load C for beta calc
_v_add_lshl_u32 v85, v3, v4, 0x1                   // scaleToBpe: accumulate d0 lower and *= bpe into Cin addr
v_cndmask_b32 v85, -1, v85, s[56:57]               // LDD clip if OOB. offset
/* (d1,vc1,d0,vc0)=(2,0,2,0) */
_v_add_co_u32 v4, vcc, v0, 64                      // coord0.1: coord0 += d0*sg0*VW + vc0
v_cmp_lt_u32 s[52:53], v4, s[sgprSizeI]            // coord0 < size0
v_cmp_lt_u32 s[56:57], v1, s[sgprSizeJ]            // coord1 < size1
s_and_b64 s[56:57], s[52:53], s[56:57]             // in0 && in1
_v_add_lshl_u32 v88, v2, v4, 0x1                   // scaleToBpe: accumulate d0 lower and *= bpe into Cin addr
v_cndmask_b32 v88, -1, v88, s[56:57]               // LDC clip if OOB. offset
_buffer_load_d16_b16 v89, v88, s[sgprSrdC:sgprSrdC+3], 0, offen offset:0 // load C for beta calc
_v_add_lshl_u32 v88, v3, v4, 0x1                   // scaleToBpe: accumulate d0 lower and *= bpe into Cin addr
v_cndmask_b32 v88, -1, v88, s[56:57]               // LDD clip if OOB. offset
/* (d1,vc1,d0,vc0)=(2,1,0,0) */
_v_add_co_u32 v1, vcc, v1, 1                       // coord1.1: coord1Vgpr += d1*sg1*VW + vc1

/* Fix for UseInitialStridesCD, emitAddressSetupCode */
_v_add_u32 v2, v2, s[sgprStrideC1J]                // ROWINC- Move cinRowPtr to next row
_v_add_u32 v3, v3, s[sgprStrideD1J]                // Move coutRowPtr to next row
v_cmp_lt_u32 s[52:53], v0, s[sgprSizeI]            // coord0 < size0
v_cmp_lt_u32 s[56:57], v1, s[sgprSizeJ]            // coord1 < size1
s_and_b64 s[56:57], s[52:53], s[56:57]             // in0 && in1
_v_add_lshl_u32 v91, v2, v0, 0x1                   // scaleToBpe: accumulate d0 lower and *= bpe into Cin addr
v_cndmask_b32 v91, -1, v91, s[56:57]               // LDC clip if OOB. offset
_buffer_load_d16_b16 v92, v91, s[sgprSrdC:sgprSrdC+3], 0, offen offset:0 // load C for beta calc
_v_add_lshl_u32 v91, v3, v0, 0x1                   // scaleToBpe: accumulate d0 lower and *= bpe into Cin addr
v_cndmask_b32 v91, -1, v91, s[56:57]               // LDD clip if OOB. offset
/* (d1,vc1,d0,vc0)=(2,1,1,0) */
_v_add_co_u32 v4, vcc, v0, 32                      // coord0.1: coord0 += d0*sg0*VW + vc0
v_cmp_lt_u32 s[52:53], v4, s[sgprSizeI]            // coord0 < size0
v_cmp_lt_u32 s[56:57], v1, s[sgprSizeJ]            // coord1 < size1
s_and_b64 s[56:57], s[52:53], s[56:57]             // in0 && in1
_v_add_lshl_u32 v94, v2, v4, 0x1                   // scaleToBpe: accumulate d0 lower and *= bpe into Cin addr
v_cndmask_b32 v94, -1, v94, s[56:57]               // LDC clip if OOB. offset
_buffer_load_d16_b16 v95, v94, s[sgprSrdC:sgprSrdC+3], 0, offen offset:0 // load C for beta calc
_v_add_lshl_u32 v94, v3, v4, 0x1                   // scaleToBpe: accumulate d0 lower and *= bpe into Cin addr
v_cndmask_b32 v94, -1, v94, s[56:57]               // LDD clip if OOB. offset
/* (d1,vc1,d0,vc0)=(2,1,2,0) */
_v_add_co_u32 v4, vcc, v0, 64                      // coord0.1: coord0 += d0*sg0*VW + vc0
v_cmp_lt_u32 s[52:53], v4, s[sgprSizeI]            // coord0 < size0
v_cmp_lt_u32 s[56:57], v1, s[sgprSizeJ]            // coord1 < size1
s_and_b64 s[56:57], s[52:53], s[56:57]             // in0 && in1
_v_add_lshl_u32 v100, v2, v4, 0x1                  // scaleToBpe: accumulate d0 lower and *= bpe into Cin addr
v_cndmask_b32 v100, -1, v100, s[56:57]             // LDC clip if OOB. offset
_buffer_load_d16_b16 v101, v100, s[sgprSrdC:sgprSrdC+3], 0, offen offset:0 // load C for beta calc
_v_add_lshl_u32 v100, v3, v4, 0x1                  // scaleToBpe: accumulate d0 lower and *= bpe into Cin addr
v_cndmask_b32 v100, -1, v100, s[56:57]             // LDD clip if OOB. offset
/* (d1,vc1,d0,vc0)=(2,2,0,0) */
_v_add_co_u32 v1, vcc, v1, 1                       // coord1.1: coord1Vgpr += d1*sg1*VW + vc1

/* Fix for UseInitialStridesCD, emitAddressSetupCode */
_v_add_u32 v2, v2, s[sgprStrideC1J]                // ROWINC- Move cinRowPtr to next row
_v_add_u32 v3, v3, s[sgprStrideD1J]                // Move coutRowPtr to next row
v_cmp_lt_u32 s[52:53], v0, s[sgprSizeI]            // coord0 < size0
v_cmp_lt_u32 s[56:57], v1, s[sgprSizeJ]            // coord1 < size1
s_and_b64 s[56:57], s[52:53], s[56:57]             // in0 && in1
_v_add_lshl_u32 v103, v2, v0, 0x1                  // scaleToBpe: accumulate d0 lower and *= bpe into Cin addr
v_cndmask_b32 v103, -1, v103, s[56:57]             // LDC clip if OOB. offset
_buffer_load_d16_b16 v104, v103, s[sgprSrdC:sgprSrdC+3], 0, offen offset:0 // load C for beta calc
_v_add_lshl_u32 v103, v3, v0, 0x1                  // scaleToBpe: accumulate d0 lower and *= bpe into Cin addr
v_cndmask_b32 v103, -1, v103, s[56:57]             // LDD clip if OOB. offset
/* (d1,vc1,d0,vc0)=(2,2,1,0) */
_v_add_co_u32 v4, vcc, v0, 32                      // coord0.1: coord0 += d0*sg0*VW + vc0
v_cmp_lt_u32 s[52:53], v4, s[sgprSizeI]            // coord0 < size0
v_cmp_lt_u32 s[56:57], v1, s[sgprSizeJ]            // coord1 < size1
s_and_b64 s[56:57], s[52:53], s[56:57]             // in0 && in1
_v_add_lshl_u32 v106, v2, v4, 0x1                  // scaleToBpe: accumulate d0 lower and *= bpe into Cin addr
v_cndmask_b32 v106, -1, v106, s[56:57]             // LDC clip if OOB. offset
_buffer_load_d16_b16 v107, v106, s[sgprSrdC:sgprSrdC+3], 0, offen offset:0 // load C for beta calc
_v_add_lshl_u32 v106, v3, v4, 0x1                  // scaleToBpe: accumulate d0 lower and *= bpe into Cin addr
v_cndmask_b32 v106, -1, v106, s[56:57]             // LDD clip if OOB. offset
/* (d1,vc1,d0,vc0)=(2,2,2,0) */
_v_add_co_u32 v4, vcc, v0, 64                      // coord0.1: coord0 += d0*sg0*VW + vc0
v_cmp_lt_u32 s[52:53], v4, s[sgprSizeI]            // coord0 < size0
v_cmp_lt_u32 s[56:57], v1, s[sgprSizeJ]            // coord1 < size1
s_and_b64 s[56:57], s[52:53], s[56:57]             // in0 && in1
_v_add_lshl_u32 v109, v2, v4, 0x1                  // scaleToBpe: accumulate d0 lower and *= bpe into Cin addr
v_cndmask_b32 v109, -1, v109, s[56:57]             // LDC clip if OOB. offset
_buffer_load_d16_b16 v110, v109, s[sgprSrdC:sgprSrdC+3], 0, offen offset:0 // load C for beta calc
_v_add_lshl_u32 v109, v3, v4, 0x1                  // scaleToBpe: accumulate d0 lower and *= bpe into Cin addr
v_cndmask_b32 v109, -1, v109, s[56:57]             // LDD clip if OOB. offset
/* (d1,vc1,d0,vc0)=(2,3,0,0) */
_v_add_co_u32 v1, vcc, v1, 1                       // coord1.1: coord1Vgpr += d1*sg1*VW + vc1

/* Fix for UseInitialStridesCD, emitAddressSetupCode */
_v_add_u32 v2, v2, s[sgprStrideC1J]                // ROWINC- Move cinRowPtr to next row
_v_add_u32 v3, v3, s[sgprStrideD1J]                // Move coutRowPtr to next row
v_cmp_lt_u32 s[52:53], v0, s[sgprSizeI]            // coord0 < size0
v_cmp_lt_u32 s[56:57], v1, s[sgprSizeJ]            // coord1 < size1
s_and_b64 s[56:57], s[52:53], s[56:57]             // in0 && in1
_v_add_lshl_u32 v112, v2, v0, 0x1                  // scaleToBpe: accumulate d0 lower and *= bpe into Cin addr
v_cndmask_b32 v112, -1, v112, s[56:57]             // LDC clip if OOB. offset
_buffer_load_d16_b16 v113, v112, s[sgprSrdC:sgprSrdC+3], 0, offen offset:0 // load C for beta calc
_v_add_lshl_u32 v112, v3, v0, 0x1                  // scaleToBpe: accumulate d0 lower and *= bpe into Cin addr
v_cndmask_b32 v112, -1, v112, s[56:57]             // LDD clip if OOB. offset
/* (d1,vc1,d0,vc0)=(2,3,1,0) */
_v_add_co_u32 v4, vcc, v0, 32                      // coord0.1: coord0 += d0*sg0*VW + vc0
v_cmp_lt_u32 s[52:53], v4, s[sgprSizeI]            // coord0 < size0
v_cmp_lt_u32 s[56:57], v1, s[sgprSizeJ]            // coord1 < size1
s_and_b64 s[56:57], s[52:53], s[56:57]             // in0 && in1
_v_add_lshl_u32 v115, v2, v4, 0x1                  // scaleToBpe: accumulate d0 lower and *= bpe into Cin addr
v_cndmask_b32 v115, -1, v115, s[56:57]             // LDC clip if OOB. offset
_buffer_load_d16_b16 v116, v115, s[sgprSrdC:sgprSrdC+3], 0, offen offset:0 // load C for beta calc
_v_add_lshl_u32 v115, v3, v4, 0x1                  // scaleToBpe: accumulate d0 lower and *= bpe into Cin addr
v_cndmask_b32 v115, -1, v115, s[56:57]             // LDD clip if OOB. offset
/* (d1,vc1,d0,vc0)=(2,3,2,0) */
_v_add_co_u32 v4, vcc, v0, 64                      // coord0.1: coord0 += d0*sg0*VW + vc0
v_cmp_lt_u32 s[52:53], v4, s[sgprSizeI]            // coord0 < size0
v_cmp_lt_u32 s[56:57], v1, s[sgprSizeJ]            // coord1 < size1
s_and_b64 s[56:57], s[52:53], s[56:57]             // in0 && in1
_v_add_lshl_u32 v118, v2, v4, 0x1                  // scaleToBpe: accumulate d0 lower and *= bpe into Cin addr
v_cndmask_b32 v118, -1, v118, s[56:57]             // LDC clip if OOB. offset
_buffer_load_d16_b16 v119, v118, s[sgprSrdC:sgprSrdC+3], 0, offen offset:0 // load C for beta calc
_v_add_lshl_u32 v118, v3, v4, 0x1                  // scaleToBpe: accumulate d0 lower and *= bpe into Cin addr
v_cndmask_b32 v118, -1, v118, s[56:57]             // LDD clip if OOB. offset
/* (d1,vc1,d0,vc0)=(3,0,0,0) */
_v_add_co_u32 v1, vcc, v1, 5                       // coord1.1: coord1Vgpr += d1*sg1*VW + vc1

/* Fix for UseInitialStridesCD, emitAddressSetupCode */
s_mul_i32 s52, s[sgprStrideC1J], 5                 // scale stride
_v_add_u32 v2, v2, s52                             // ROWINC- Move cinRowPtr to next row
s_mul_i32 s52, s[sgprStrideD1J], 5                 // scale stride
_v_add_u32 v3, v3, s52                             // Move coutRowPtr to next row
v_cmp_lt_u32 s[52:53], v0, s[sgprSizeI]            // coord0 < size0
v_cmp_lt_u32 s[56:57], v1, s[sgprSizeJ]            // coord1 < size1
s_and_b64 s[56:57], s[52:53], s[56:57]             // in0 && in1
_v_add_lshl_u32 v121, v2, v0, 0x1                  // scaleToBpe: accumulate d0 lower and *= bpe into Cin addr
v_cndmask_b32 v121, -1, v121, s[56:57]             // LDC clip if OOB. offset
_buffer_load_d16_b16 v122, v121, s[sgprSrdC:sgprSrdC+3], 0, offen offset:0 // load C for beta calc
_v_add_lshl_u32 v121, v3, v0, 0x1                  // scaleToBpe: accumulate d0 lower and *= bpe into Cin addr
v_cndmask_b32 v121, -1, v121, s[56:57]             // LDD clip if OOB. offset
/* (d1,vc1,d0,vc0)=(3,0,1,0) */
_v_add_co_u32 v4, vcc, v0, 32                      // coord0.1: coord0 += d0*sg0*VW + vc0
v_cmp_lt_u32 s[52:53], v4, s[sgprSizeI]            // coord0 < size0
v_cmp_lt_u32 s[56:57], v1, s[sgprSizeJ]            // coord1 < size1
s_and_b64 s[56:57], s[52:53], s[56:57]             // in0 && in1
_v_add_lshl_u32 v124, v2, v4, 0x1                  // scaleToBpe: accumulate d0 lower and *= bpe into Cin addr
v_cndmask_b32 v124, -1, v124, s[56:57]             // LDC clip if OOB. offset
_buffer_load_d16_b16 v125, v124, s[sgprSrdC:sgprSrdC+3], 0, offen offset:0 // load C for beta calc
_v_add_lshl_u32 v124, v3, v4, 0x1                  // scaleToBpe: accumulate d0 lower and *= bpe into Cin addr
v_cndmask_b32 v124, -1, v124, s[56:57]             // LDD clip if OOB. offset
/* (d1,vc1,d0,vc0)=(3,0,2,0) */
_v_add_co_u32 v4, vcc, v0, 64                      // coord0.1: coord0 += d0*sg0*VW + vc0
v_cmp_lt_u32 s[52:53], v4, s[sgprSizeI]            // coord0 < size0
v_cmp_lt_u32 s[56:57], v1, s[sgprSizeJ]            // coord1 < size1
s_and_b64 s[56:57], s[52:53], s[56:57]             // in0 && in1
_v_add_lshl_u32 v127, v2, v4, 0x1                  // scaleToBpe: accumulate d0 lower and *= bpe into Cin addr
v_cndmask_b32 v127, -1, v127, s[56:57]             // LDC clip if OOB. offset
_buffer_load_d16_b16 v128, v127, s[sgprSrdC:sgprSrdC+3], 0, offen offset:0 // load C for beta calc
_v_add_lshl_u32 v127, v3, v4, 0x1                  // scaleToBpe: accumulate d0 lower and *= bpe into Cin addr
v_cndmask_b32 v127, -1, v127, s[56:57]             // LDD clip if OOB. offset
/* (d1,vc1,d0,vc0)=(3,1,0,0) */
_v_add_co_u32 v1, vcc, v1, 1                       // coord1.1: coord1Vgpr += d1*sg1*VW + vc1

/* Fix for UseInitialStridesCD, emitAddressSetupCode */
_v_add_u32 v2, v2, s[sgprStrideC1J]                // ROWINC- Move cinRowPtr to next row
_v_add_u32 v3, v3, s[sgprStrideD1J]                // Move coutRowPtr to next row
v_cmp_lt_u32 s[52:53], v0, s[sgprSizeI]            // coord0 < size0
v_cmp_lt_u32 s[56:57], v1, s[sgprSizeJ]            // coord1 < size1
s_and_b64 s[56:57], s[52:53], s[56:57]             // in0 && in1
_v_add_lshl_u32 v130, v2, v0, 0x1                  // scaleToBpe: accumulate d0 lower and *= bpe into Cin addr
v_cndmask_b32 v130, -1, v130, s[56:57]             // LDC clip if OOB. offset
_buffer_load_d16_b16 v131, v130, s[sgprSrdC:sgprSrdC+3], 0, offen offset:0 // load C for beta calc
_v_add_lshl_u32 v130, v3, v0, 0x1                  // scaleToBpe: accumulate d0 lower and *= bpe into Cin addr
v_cndmask_b32 v130, -1, v130, s[56:57]             // LDD clip if OOB. offset
/* (d1,vc1,d0,vc0)=(3,1,1,0) */
_v_add_co_u32 v4, vcc, v0, 32                      // coord0.1: coord0 += d0*sg0*VW + vc0
v_cmp_lt_u32 s[52:53], v4, s[sgprSizeI]            // coord0 < size0
v_cmp_lt_u32 s[56:57], v1, s[sgprSizeJ]            // coord1 < size1
s_and_b64 s[56:57], s[52:53], s[56:57]             // in0 && in1
_v_add_lshl_u32 v133, v2, v4, 0x1                  // scaleToBpe: accumulate d0 lower and *= bpe into Cin addr
v_cndmask_b32 v133, -1, v133, s[56:57]             // LDC clip if OOB. offset
_buffer_load_d16_b16 v134, v133, s[sgprSrdC:sgprSrdC+3], 0, offen offset:0 // load C for beta calc
_v_add_lshl_u32 v133, v3, v4, 0x1                  // scaleToBpe: accumulate d0 lower and *= bpe into Cin addr
v_cndmask_b32 v133, -1, v133, s[56:57]             // LDD clip if OOB. offset
/* (d1,vc1,d0,vc0)=(3,1,2,0) */
_v_add_co_u32 v4, vcc, v0, 64                      // coord0.1: coord0 += d0*sg0*VW + vc0
v_cmp_lt_u32 s[52:53], v4, s[sgprSizeI]            // coord0 < size0
v_cmp_lt_u32 s[56:57], v1, s[sgprSizeJ]            // coord1 < size1
s_and_b64 s[56:57], s[52:53], s[56:57]             // in0 && in1
_v_add_lshl_u32 v136, v2, v4, 0x1                  // scaleToBpe: accumulate d0 lower and *= bpe into Cin addr
v_cndmask_b32 v136, -1, v136, s[56:57]             // LDC clip if OOB. offset
_buffer_load_d16_b16 v137, v136, s[sgprSrdC:sgprSrdC+3], 0, offen offset:0 // load C for beta calc
_v_add_lshl_u32 v136, v3, v4, 0x1                  // scaleToBpe: accumulate d0 lower and *= bpe into Cin addr
v_cndmask_b32 v136, -1, v136, s[56:57]             // LDD clip if OOB. offset
/* (d1,vc1,d0,vc0)=(3,2,0,0) */
_v_add_co_u32 v1, vcc, v1, 1                       // coord1.1: coord1Vgpr += d1*sg1*VW + vc1

/* Fix for UseInitialStridesCD, emitAddressSetupCode */
_v_add_u32 v2, v2, s[sgprStrideC1J]                // ROWINC- Move cinRowPtr to next row
_v_add_u32 v3, v3, s[sgprStrideD1J]                // Move coutRowPtr to next row
	;; [unrolled: 34-line block ×3, first 2 shown]
v_cmp_lt_u32 s[52:53], v0, s[sgprSizeI]            // coord0 < size0
v_cmp_lt_u32 s[56:57], v1, s[sgprSizeJ]            // coord1 < size1
s_and_b64 s[56:57], s[52:53], s[56:57]             // in0 && in1
_v_add_lshl_u32 v148, v2, v0, 0x1                  // scaleToBpe: accumulate d0 lower and *= bpe into Cin addr
v_cndmask_b32 v148, -1, v148, s[56:57]             // LDC clip if OOB. offset
_buffer_load_d16_b16 v149, v148, s[sgprSrdC:sgprSrdC+3], 0, offen offset:0 // load C for beta calc
_v_add_lshl_u32 v148, v3, v0, 0x1                  // scaleToBpe: accumulate d0 lower and *= bpe into Cin addr
v_cndmask_b32 v148, -1, v148, s[56:57]             // LDD clip if OOB. offset
/* (d1,vc1,d0,vc0)=(3,3,1,0) */
_v_add_co_u32 v4, vcc, v0, 32                      // coord0.1: coord0 += d0*sg0*VW + vc0
v_cmp_lt_u32 s[52:53], v4, s[sgprSizeI]            // coord0 < size0
v_cmp_lt_u32 s[56:57], v1, s[sgprSizeJ]            // coord1 < size1
s_and_b64 s[56:57], s[52:53], s[56:57]             // in0 && in1
_v_add_lshl_u32 v151, v2, v4, 0x1                  // scaleToBpe: accumulate d0 lower and *= bpe into Cin addr
v_cndmask_b32 v151, -1, v151, s[56:57]             // LDC clip if OOB. offset
_buffer_load_d16_b16 v152, v151, s[sgprSrdC:sgprSrdC+3], 0, offen offset:0 // load C for beta calc
_v_add_lshl_u32 v151, v3, v4, 0x1                  // scaleToBpe: accumulate d0 lower and *= bpe into Cin addr
v_cndmask_b32 v151, -1, v151, s[56:57]             // LDD clip if OOB. offset
/* (d1,vc1,d0,vc0)=(3,3,2,0) */
_v_add_co_u32 v4, vcc, v0, 64                      // coord0.1: coord0 += d0*sg0*VW + vc0
v_cmp_lt_u32 s[52:53], v4, s[sgprSizeI]            // coord0 < size0
v_cmp_lt_u32 s[56:57], v1, s[sgprSizeJ]            // coord1 < size1
s_and_b64 s[56:57], s[52:53], s[56:57]             // in0 && in1
_v_add_lshl_u32 v154, v2, v4, 0x1                  // scaleToBpe: accumulate d0 lower and *= bpe into Cin addr
v_cndmask_b32 v154, -1, v154, s[56:57]             // LDC clip if OOB. offset
_buffer_load_d16_b16 v155, v154, s[sgprSrdC:sgprSrdC+3], 0, offen offset:0 // load C for beta calc
_v_add_lshl_u32 v154, v3, v4, 0x1                  // scaleToBpe: accumulate d0 lower and *= bpe into Cin addr
v_cndmask_b32 v154, -1, v154, s[56:57]             // LDD clip if OOB. offset
s_sleep 3 // optimization: sync and wait
s_barrier
v_accvgpr_read_b32 v[vgprValuC+12], acc0 // copy acc to vreg[0]
v_accvgpr_read_b32 v[vgprValuC+15], acc16 // copy acc to vreg[1]
v_accvgpr_read_b32 v[vgprValuC+18], acc32 // copy acc to vreg[2]
v_accvgpr_read_b32 v[vgprValuC+21], acc1 // copy acc to vreg[3]
v_accvgpr_read_b32 v[vgprValuC+24], acc17 // copy acc to vreg[4]
v_accvgpr_read_b32 v[vgprValuC+27], acc33 // copy acc to vreg[5]
v_accvgpr_read_b32 v[vgprValuC+30], acc2 // copy acc to vreg[6]
v_accvgpr_read_b32 v[vgprValuC+33], acc18 // copy acc to vreg[7]
v_accvgpr_read_b32 v[vgprValuC+36], acc34 // copy acc to vreg[8]
v_accvgpr_read_b32 v[vgprValuC+39], acc3 // copy acc to vreg[9]
v_accvgpr_read_b32 v[vgprValuC+42], acc19 // copy acc to vreg[10]
v_accvgpr_read_b32 v[vgprValuC+45], acc35 // copy acc to vreg[11]
v_accvgpr_read_b32 v[vgprValuC+48], acc4 // copy acc to vreg[12]
v_accvgpr_read_b32 v[vgprValuC+51], acc20 // copy acc to vreg[13]
v_accvgpr_read_b32 v[vgprValuC+54], acc36 // copy acc to vreg[14]
v_accvgpr_read_b32 v[vgprValuC+57], acc5 // copy acc to vreg[15]
v_accvgpr_read_b32 v[vgprValuC+60], acc21 // copy acc to vreg[16]
v_accvgpr_read_b32 v[vgprValuC+63], acc37 // copy acc to vreg[17]
v_accvgpr_read_b32 v[vgprValuC+66], acc6 // copy acc to vreg[18]
v_accvgpr_read_b32 v[vgprValuC+69], acc22 // copy acc to vreg[19]
v_accvgpr_read_b32 v[vgprValuC+72], acc38 // copy acc to vreg[20]
v_accvgpr_read_b32 v[vgprValuC+75], acc7 // copy acc to vreg[21]
v_accvgpr_read_b32 v[vgprValuC+78], acc23 // copy acc to vreg[22]
v_accvgpr_read_b32 v[vgprValuC+81], acc39 // copy acc to vreg[23]
v_accvgpr_read_b32 v[vgprValuC+84], acc8 // copy acc to vreg[24]
v_accvgpr_read_b32 v[vgprValuC+87], acc24 // copy acc to vreg[25]
v_accvgpr_read_b32 v[vgprValuC+90], acc40 // copy acc to vreg[26]
v_accvgpr_read_b32 v[vgprValuC+93], acc9 // copy acc to vreg[27]
v_accvgpr_read_b32 v[vgprValuC+99], acc25 // copy acc to vreg[28]
v_accvgpr_read_b32 v[vgprValuC+102], acc41 // copy acc to vreg[29]
v_accvgpr_read_b32 v[vgprValuC+105], acc10 // copy acc to vreg[30]
v_accvgpr_read_b32 v[vgprValuC+108], acc26 // copy acc to vreg[31]
v_accvgpr_read_b32 v[vgprValuC+111], acc42 // copy acc to vreg[32]
v_accvgpr_read_b32 v[vgprValuC+114], acc11 // copy acc to vreg[33]
v_accvgpr_read_b32 v[vgprValuC+117], acc27 // copy acc to vreg[34]
v_accvgpr_read_b32 v[vgprValuC+120], acc43 // copy acc to vreg[35]
v_accvgpr_read_b32 v[vgprValuC+123], acc12 // copy acc to vreg[36]
v_accvgpr_read_b32 v[vgprValuC+126], acc28 // copy acc to vreg[37]
v_accvgpr_read_b32 v[vgprValuC+129], acc44 // copy acc to vreg[38]
v_accvgpr_read_b32 v[vgprValuC+132], acc13 // copy acc to vreg[39]
v_accvgpr_read_b32 v[vgprValuC+135], acc29 // copy acc to vreg[40]
v_accvgpr_read_b32 v[vgprValuC+138], acc45 // copy acc to vreg[41]
v_accvgpr_read_b32 v[vgprValuC+141], acc14 // copy acc to vreg[42]
v_accvgpr_read_b32 v[vgprValuC+144], acc30 // copy acc to vreg[43]
v_accvgpr_read_b32 v[vgprValuC+147], acc46 // copy acc to vreg[44]
v_accvgpr_read_b32 v[vgprValuC+150], acc15 // copy acc to vreg[45]
v_accvgpr_read_b32 v[vgprValuC+153], acc31 // copy acc to vreg[46]
v_accvgpr_read_b32 v[vgprValuC+156], acc47 // copy acc to vreg[47]
s_nop 1                                            // 2 wait states required before reading vgpr

/* rC *= alpha batchElements=[(0, 0, 0, 0), (0, 1, 0, 0), (0, 2, 0, 0), (0, 0, 1, 0), (0, 1, 1, 0), (0, 2, 1, 0), (0, 0, 2, 0), (0, 1, 2, 0), (0, 2, 2, 0), (0, 0, 3, 0), (0, 1, 3, 0), (0, 2, 3, 0), (1, 0, 0, 0), (1, 1, 0, 0), (1, 2, 0, 0), (1, 0, 1, 0), (1, 1, 1, 0), (1, 2, 1, 0), (1, 0, 2, 0), (1, 1, 2, 0), (1, 2, 2, 0), (1, 0, 3, 0), (1, 1, 3, 0), (1, 2, 3, 0), (2, 0, 0, 0), (2, 1, 0, 0), (2, 2, 0, 0), (2, 0, 1, 0), (2, 1, 1, 0), (2, 2, 1, 0), (2, 0, 2, 0), (2, 1, 2, 0), (2, 2, 2, 0), (2, 0, 3, 0), (2, 1, 3, 0), (2, 2, 3, 0), (3, 0, 0, 0), (3, 1, 0, 0), (3, 2, 0, 0), (3, 0, 1, 0), (3, 1, 1, 0), (3, 2, 1, 0), (3, 0, 2, 0), (3, 1, 2, 0), (3, 2, 2, 0), (3, 0, 3, 0), (3, 1, 3, 0), (3, 2, 3, 0)] */
v_mul_f32 v[vgprValuC+12], s[sgprAlpha], v[vgprValuC+12] // *= alpha
v_mul_f32 v[vgprValuC+15], s[sgprAlpha], v[vgprValuC+15] // *= alpha
v_mul_f32 v[vgprValuC+18], s[sgprAlpha], v[vgprValuC+18] // *= alpha
v_mul_f32 v[vgprValuC+21], s[sgprAlpha], v[vgprValuC+21] // *= alpha
v_mul_f32 v[vgprValuC+24], s[sgprAlpha], v[vgprValuC+24] // *= alpha
v_mul_f32 v[vgprValuC+27], s[sgprAlpha], v[vgprValuC+27] // *= alpha
v_mul_f32 v[vgprValuC+30], s[sgprAlpha], v[vgprValuC+30] // *= alpha
v_mul_f32 v[vgprValuC+33], s[sgprAlpha], v[vgprValuC+33] // *= alpha
v_mul_f32 v[vgprValuC+36], s[sgprAlpha], v[vgprValuC+36] // *= alpha
v_mul_f32 v[vgprValuC+39], s[sgprAlpha], v[vgprValuC+39] // *= alpha
v_mul_f32 v[vgprValuC+42], s[sgprAlpha], v[vgprValuC+42] // *= alpha
v_mul_f32 v[vgprValuC+45], s[sgprAlpha], v[vgprValuC+45] // *= alpha
v_mul_f32 v[vgprValuC+48], s[sgprAlpha], v[vgprValuC+48] // *= alpha
v_mul_f32 v[vgprValuC+51], s[sgprAlpha], v[vgprValuC+51] // *= alpha
v_mul_f32 v[vgprValuC+54], s[sgprAlpha], v[vgprValuC+54] // *= alpha
v_mul_f32 v[vgprValuC+57], s[sgprAlpha], v[vgprValuC+57] // *= alpha
v_mul_f32 v[vgprValuC+60], s[sgprAlpha], v[vgprValuC+60] // *= alpha
v_mul_f32 v[vgprValuC+63], s[sgprAlpha], v[vgprValuC+63] // *= alpha
v_mul_f32 v[vgprValuC+66], s[sgprAlpha], v[vgprValuC+66] // *= alpha
v_mul_f32 v[vgprValuC+69], s[sgprAlpha], v[vgprValuC+69] // *= alpha
v_mul_f32 v[vgprValuC+72], s[sgprAlpha], v[vgprValuC+72] // *= alpha
v_mul_f32 v[vgprValuC+75], s[sgprAlpha], v[vgprValuC+75] // *= alpha
v_mul_f32 v[vgprValuC+78], s[sgprAlpha], v[vgprValuC+78] // *= alpha
v_mul_f32 v[vgprValuC+81], s[sgprAlpha], v[vgprValuC+81] // *= alpha
v_mul_f32 v[vgprValuC+84], s[sgprAlpha], v[vgprValuC+84] // *= alpha
v_mul_f32 v[vgprValuC+87], s[sgprAlpha], v[vgprValuC+87] // *= alpha
v_mul_f32 v[vgprValuC+90], s[sgprAlpha], v[vgprValuC+90] // *= alpha
v_mul_f32 v[vgprValuC+93], s[sgprAlpha], v[vgprValuC+93] // *= alpha
v_mul_f32 v[vgprValuC+99], s[sgprAlpha], v[vgprValuC+99] // *= alpha
v_mul_f32 v[vgprValuC+102], s[sgprAlpha], v[vgprValuC+102] // *= alpha
v_mul_f32 v[vgprValuC+105], s[sgprAlpha], v[vgprValuC+105] // *= alpha
v_mul_f32 v[vgprValuC+108], s[sgprAlpha], v[vgprValuC+108] // *= alpha
v_mul_f32 v[vgprValuC+111], s[sgprAlpha], v[vgprValuC+111] // *= alpha
v_mul_f32 v[vgprValuC+114], s[sgprAlpha], v[vgprValuC+114] // *= alpha
v_mul_f32 v[vgprValuC+117], s[sgprAlpha], v[vgprValuC+117] // *= alpha
v_mul_f32 v[vgprValuC+120], s[sgprAlpha], v[vgprValuC+120] // *= alpha
v_mul_f32 v[vgprValuC+123], s[sgprAlpha], v[vgprValuC+123] // *= alpha
v_mul_f32 v[vgprValuC+126], s[sgprAlpha], v[vgprValuC+126] // *= alpha
v_mul_f32 v[vgprValuC+129], s[sgprAlpha], v[vgprValuC+129] // *= alpha
v_mul_f32 v[vgprValuC+132], s[sgprAlpha], v[vgprValuC+132] // *= alpha
v_mul_f32 v[vgprValuC+135], s[sgprAlpha], v[vgprValuC+135] // *= alpha
v_mul_f32 v[vgprValuC+138], s[sgprAlpha], v[vgprValuC+138] // *= alpha
v_mul_f32 v[vgprValuC+141], s[sgprAlpha], v[vgprValuC+141] // *= alpha
v_mul_f32 v[vgprValuC+144], s[sgprAlpha], v[vgprValuC+144] // *= alpha
v_mul_f32 v[vgprValuC+147], s[sgprAlpha], v[vgprValuC+147] // *= alpha
v_mul_f32 v[vgprValuC+150], s[sgprAlpha], v[vgprValuC+150] // *= alpha
v_mul_f32 v[vgprValuC+153], s[sgprAlpha], v[vgprValuC+153] // *= alpha
v_mul_f32 v[vgprValuC+156], s[sgprAlpha], v[vgprValuC+156] // *= alpha
s_waitcnt vmcnt(0)                                 // wait C

/* apply mask, calc new C and issue writes */
v_mov_b32 v7, 0xffff0000                           // mask for pack two bfloat16 element to 32bit
v_mov_b32 v8, 0x7fff0000                           // fp32 Nan
v_mov_b32 v9, 0x7fff                               // rounding bias for bfloat16
v_lshlrev_b32 v4, 16, v11                          // convert bf16 to fp32
_v_mac_f32 v[vgprValuC+12], v4, s[sgprBeta]        // finalSum = sum*alpha + C*beta
v_cmp_u_f32 s[52:53], v[vgprValuC+12], v[vgprValuC+12] // check Nan
v_bfe_u32 v6, v[vgprValuC+12], 16, 1               // Non-Nan case: store lsb of bf16
v_add3_u32 v6, v[vgprValuC+12], v6, v9             // Non-Nan case: add lsb and the increment for rounding
v_cndmask_b32 v[vgprValuC+12], v6, v8, s[52:53]    // 
v_lshrrev_b32 v[vgprValuC+12], 16, v[vgprValuC+12] // convert C to bf16
_buffer_store_b16 v12, v10, s[sgprSrdD:sgprSrdD+3], 0, offen, offset:0 // store D
v_lshlrev_b32 v4, 16, v14                          // convert bf16 to fp32
_v_mac_f32 v[vgprValuC+15], v4, s[sgprBeta]        // finalSum = sum*alpha + C*beta
v_cmp_u_f32 s[52:53], v[vgprValuC+15], v[vgprValuC+15] // check Nan
v_bfe_u32 v6, v[vgprValuC+15], 16, 1               // Non-Nan case: store lsb of bf16
v_add3_u32 v6, v[vgprValuC+15], v6, v9             // Non-Nan case: add lsb and the increment for rounding
v_cndmask_b32 v[vgprValuC+15], v6, v8, s[52:53]    // 
v_lshrrev_b32 v[vgprValuC+15], 16, v[vgprValuC+15] // convert C to bf16
_buffer_store_b16 v15, v13, s[sgprSrdD:sgprSrdD+3], 0, offen, offset:0 // store D
	;; [unrolled: 8-line block ×29, first 2 shown]
v_lshlrev_b32 v4, 16, v101                         // convert bf16 to fp32
_v_mac_f32 v[vgprValuC+102], v4, s[sgprBeta]       // finalSum = sum*alpha + C*beta
v_cmp_u_f32 s[52:53], v[vgprValuC+102], v[vgprValuC+102] // check Nan
v_bfe_u32 v6, v[vgprValuC+102], 16, 1              // Non-Nan case: store lsb of bf16
v_add3_u32 v6, v[vgprValuC+102], v6, v9            // Non-Nan case: add lsb and the increment for rounding
v_cndmask_b32 v[vgprValuC+102], v6, v8, s[52:53]   // 
v_lshrrev_b32 v[vgprValuC+102], 16, v[vgprValuC+102] // convert C to bf16
_buffer_store_b16 v102, v100, s[sgprSrdD:sgprSrdD+3], 0, offen, offset:0 // store D
v_lshlrev_b32 v4, 16, v104                         // convert bf16 to fp32
_v_mac_f32 v[vgprValuC+105], v4, s[sgprBeta]       // finalSum = sum*alpha + C*beta
v_cmp_u_f32 s[52:53], v[vgprValuC+105], v[vgprValuC+105] // check Nan
v_bfe_u32 v6, v[vgprValuC+105], 16, 1              // Non-Nan case: store lsb of bf16
v_add3_u32 v6, v[vgprValuC+105], v6, v9            // Non-Nan case: add lsb and the increment for rounding
v_cndmask_b32 v[vgprValuC+105], v6, v8, s[52:53]   // 
v_lshrrev_b32 v[vgprValuC+105], 16, v[vgprValuC+105] // convert C to bf16
_buffer_store_b16 v105, v103, s[sgprSrdD:sgprSrdD+3], 0, offen, offset:0 // store D
	;; [unrolled: 8-line block ×19, first 2 shown]
s_nop 0                                            // 1 wait state required when next inst writes vgprs held by previous dwordx4 store inst
s_branch label_GW_End_44                           // jump to end
label_GW_End_44:

label_0049:  /// KernelEnd
s_endpgm                                           // Kernel End

